;; amdgpu-corpus repo=ROCm/rocFFT kind=compiled arch=gfx1201 opt=O3
	.text
	.amdgcn_target "amdgcn-amd-amdhsa--gfx1201"
	.amdhsa_code_object_version 6
	.protected	bluestein_single_back_len1377_dim1_sp_op_CI_CI ; -- Begin function bluestein_single_back_len1377_dim1_sp_op_CI_CI
	.globl	bluestein_single_back_len1377_dim1_sp_op_CI_CI
	.p2align	8
	.type	bluestein_single_back_len1377_dim1_sp_op_CI_CI,@function
bluestein_single_back_len1377_dim1_sp_op_CI_CI: ; @bluestein_single_back_len1377_dim1_sp_op_CI_CI
; %bb.0:
	s_load_b128 s[12:15], s[0:1], 0x28
	v_mul_u32_u24_e32 v1, 0x506, v0
	s_mov_b32 s2, exec_lo
	v_mov_b32_e32 v195, 0
	s_delay_alu instid0(VALU_DEP_2) | instskip(NEXT) | instid1(VALU_DEP_1)
	v_lshrrev_b32_e32 v1, 16, v1
	v_add_nc_u32_e32 v194, ttmp9, v1
	s_wait_kmcnt 0x0
	s_delay_alu instid0(VALU_DEP_1)
	v_cmpx_gt_u64_e64 s[12:13], v[194:195]
	s_cbranch_execz .LBB0_15
; %bb.1:
	s_clause 0x1
	s_load_b128 s[4:7], s[0:1], 0x18
	s_load_b64 s[12:13], s[0:1], 0x0
	v_mul_lo_u16 v1, v1, 51
	s_delay_alu instid0(VALU_DEP_1) | instskip(NEXT) | instid1(VALU_DEP_1)
	v_sub_nc_u16 v46, v0, v1
	v_and_b32_e32 v197, 0xffff, v46
	s_wait_kmcnt 0x0
	s_load_b128 s[8:11], s[4:5], 0x0
	s_wait_kmcnt 0x0
	v_mad_co_u64_u32 v[0:1], null, s10, v194, 0
	v_mad_co_u64_u32 v[2:3], null, s8, v197, 0
	s_mul_u64 s[2:3], s[8:9], 0x51
	s_delay_alu instid0(VALU_DEP_1) | instskip(NEXT) | instid1(VALU_DEP_1)
	v_mad_co_u64_u32 v[4:5], null, s11, v194, v[1:2]
	v_dual_mov_b32 v1, v4 :: v_dual_lshlrev_b32 v212, 3, v197
	s_delay_alu instid0(VALU_DEP_3)
	v_mad_co_u64_u32 v[5:6], null, s9, v197, v[3:4]
	s_clause 0x7
	global_load_b64 v[51:52], v212, s[12:13]
	global_load_b64 v[53:54], v212, s[12:13] offset:648
	global_load_b64 v[208:209], v212, s[12:13] offset:1296
	;; [unrolled: 1-line block ×7, first 2 shown]
	v_lshlrev_b64_e32 v[0:1], 3, v[0:1]
	v_add_nc_u32_e32 v14, 0x800, v212
	s_clause 0x6
	global_load_b64 v[202:203], v212, s[12:13] offset:5184
	global_load_b64 v[185:186], v212, s[12:13] offset:5832
	;; [unrolled: 1-line block ×7, first 2 shown]
	v_mov_b32_e32 v3, v5
	v_add_co_u32 v0, vcc_lo, s14, v0
	v_add_co_ci_u32_e32 v1, vcc_lo, s15, v1, vcc_lo
	s_delay_alu instid0(VALU_DEP_3) | instskip(SKIP_2) | instid1(VALU_DEP_1)
	v_lshlrev_b64_e32 v[2:3], 3, v[2:3]
	s_lshl_b64 s[14:15], s[2:3], 3
	v_add_co_u32 v173, s2, s12, v212
	v_add_co_ci_u32_e64 v174, null, s13, 0, s2
	s_delay_alu instid0(VALU_DEP_3) | instskip(SKIP_3) | instid1(VALU_DEP_2)
	v_add_co_u32 v0, vcc_lo, v0, v2
	s_wait_alu 0xfffd
	v_add_co_ci_u32_e32 v1, vcc_lo, v1, v3, vcc_lo
	s_wait_alu 0xfffe
	v_add_co_u32 v2, vcc_lo, v0, s14
	s_wait_alu 0xfffd
	s_delay_alu instid0(VALU_DEP_2) | instskip(SKIP_4) | instid1(VALU_DEP_2)
	v_add_co_ci_u32_e32 v3, vcc_lo, s15, v1, vcc_lo
	global_load_b64 v[8:9], v[0:1], off
	v_add_co_u32 v4, vcc_lo, v2, s14
	s_wait_alu 0xfffd
	v_add_co_ci_u32_e32 v5, vcc_lo, s15, v3, vcc_lo
	v_add_co_u32 v6, vcc_lo, v4, s14
	s_wait_alu 0xfffd
	s_delay_alu instid0(VALU_DEP_2) | instskip(NEXT) | instid1(VALU_DEP_2)
	v_add_co_ci_u32_e32 v7, vcc_lo, s15, v5, vcc_lo
	v_add_co_u32 v0, vcc_lo, v6, s14
	s_wait_alu 0xfffd
	s_delay_alu instid0(VALU_DEP_2)
	v_add_co_ci_u32_e32 v1, vcc_lo, s15, v7, vcc_lo
	s_clause 0x2
	global_load_b64 v[10:11], v[2:3], off
	global_load_b64 v[4:5], v[4:5], off
	;; [unrolled: 1-line block ×3, first 2 shown]
	v_add_co_u32 v2, vcc_lo, v0, s14
	s_wait_alu 0xfffd
	v_add_co_ci_u32_e32 v3, vcc_lo, s15, v1, vcc_lo
	global_load_b64 v[16:17], v[0:1], off
	v_add_co_u32 v0, vcc_lo, v2, s14
	s_wait_alu 0xfffd
	v_add_co_ci_u32_e32 v1, vcc_lo, s15, v3, vcc_lo
	global_load_b64 v[18:19], v[2:3], off
	;; [unrolled: 4-line block ×11, first 2 shown]
	v_add_co_u32 v0, vcc_lo, v2, s14
	s_wait_alu 0xfffd
	v_add_co_ci_u32_e32 v1, vcc_lo, s15, v3, vcc_lo
	global_load_b64 v[198:199], v212, s[12:13] offset:9720
	global_load_b64 v[38:39], v[2:3], off
	global_load_b64 v[200:201], v212, s[12:13] offset:10368
	global_load_b64 v[40:41], v[0:1], off
	v_add_nc_u32_e32 v3, 0xc00, v212
	v_add_nc_u32_e32 v2, 0x1000, v212
	;; [unrolled: 1-line block ×3, first 2 shown]
	s_load_b64 s[10:11], s[0:1], 0x38
	s_load_b128 s[4:7], s[6:7], 0x0
	v_cmp_gt_u16_e32 vcc_lo, 30, v46
	s_wait_loadcnt 0x21
	scratch_store_b64 off, v[51:52], off offset:16 ; 8-byte Folded Spill
	s_wait_loadcnt 0x20
	scratch_store_b64 off, v[53:54], off offset:24 ; 8-byte Folded Spill
	s_wait_loadcnt 0x1c
	s_clause 0x1
	scratch_store_b64 off, v[47:48], off
	scratch_store_b64 off, v[49:50], off offset:8
	s_wait_loadcnt 0x12
	v_mul_f32_e32 v42, v9, v52
	s_delay_alu instid0(VALU_DEP_1) | instskip(SKIP_4) | instid1(VALU_DEP_2)
	v_dual_fmac_f32 v42, v8, v51 :: v_dual_add_nc_u32 v13, 0x1c00, v212
	s_wait_loadcnt 0x11
	v_dual_mul_f32 v44, v11, v54 :: v_dual_mul_f32 v15, v8, v52
	s_wait_loadcnt 0x10
	v_dual_mul_f32 v45, v10, v54 :: v_dual_mul_f32 v8, v5, v209
	v_fmac_f32_e32 v44, v10, v53
	s_delay_alu instid0(VALU_DEP_3) | instskip(SKIP_1) | instid1(VALU_DEP_4)
	v_fma_f32 v43, v9, v51, -v15
	v_add_nc_u32_e32 v15, 0x2000, v212
	v_fma_f32 v45, v11, v53, -v45
	s_wait_loadcnt 0xf
	v_dual_mul_f32 v9, v4, v209 :: v_dual_mul_f32 v10, v7, v50
	v_fmac_f32_e32 v8, v4, v208
	s_wait_loadcnt 0xe
	v_mul_f32_e32 v4, v17, v207
	ds_store_2addr_b64 v212, v[42:43], v[44:45] offset1:81
	v_fma_f32 v9, v5, v208, -v9
	v_dual_mul_f32 v5, v6, v50 :: v_dual_mul_f32 v42, v16, v207
	s_wait_loadcnt 0xd
	v_mul_f32_e32 v43, v18, v48
	v_fmac_f32_e32 v10, v6, v49
	v_mul_f32_e32 v6, v19, v48
	v_fma_f32 v11, v7, v49, -v5
	v_fma_f32 v5, v17, v206, -v42
	v_fma_f32 v7, v19, v47, -v43
	s_wait_loadcnt 0xc
	v_mul_f32_e32 v17, v20, v205
	v_fmac_f32_e32 v4, v16, v206
	v_fmac_f32_e32 v6, v18, v47
	v_mul_f32_e32 v16, v21, v205
	s_delay_alu instid0(VALU_DEP_4)
	v_fma_f32 v17, v21, v204, -v17
	ds_store_2addr_b64 v14, v[4:5], v[6:7] offset0:68 offset1:149
	s_wait_loadcnt 0xa
	v_dual_mul_f32 v5, v22, v196 :: v_dual_mul_f32 v4, v25, v203
	v_mul_f32_e32 v7, v24, v203
	ds_store_2addr_b64 v212, v[8:9], v[10:11] offset0:162 offset1:243
	s_wait_loadcnt 0x9
	v_mul_f32_e32 v6, v27, v186
	v_mul_f32_e32 v10, v26, v186
	;; [unrolled: 1-line block ×3, first 2 shown]
	v_fma_f32 v9, v23, v195, -v5
	v_fmac_f32_e32 v4, v24, v202
	v_fma_f32 v5, v25, v202, -v7
	v_fmac_f32_e32 v6, v26, v185
	;; [unrolled: 2-line block ×3, first 2 shown]
	s_wait_loadcnt 0x7
	v_mul_f32_e32 v10, v31, v193
	ds_store_2addr_b64 v2, v[4:5], v[6:7] offset0:136 offset1:217
	s_wait_loadcnt 0x6
	v_dual_mul_f32 v5, v30, v193 :: v_dual_mul_f32 v4, v33, v182
	v_fmac_f32_e32 v10, v30, v192
	s_wait_loadcnt 0x5
	v_mul_f32_e32 v7, v34, v189
	v_fmac_f32_e32 v8, v22, v195
	v_fma_f32 v11, v31, v192, -v5
	v_dual_mul_f32 v5, v32, v182 :: v_dual_mul_f32 v6, v35, v189
	v_fmac_f32_e32 v4, v32, v181
	v_fma_f32 v7, v35, v188, -v7
	s_wait_loadcnt 0x2
	v_mul_f32_e32 v19, v38, v199
	s_wait_loadcnt 0x0
	v_dual_mul_f32 v18, v39, v199 :: v_dual_mul_f32 v21, v40, v201
	ds_store_2addr_b64 v3, v[16:17], v[8:9] offset0:102 offset1:183
	v_mul_f32_e32 v8, v29, v191
	v_dual_mul_f32 v9, v28, v191 :: v_dual_mul_f32 v16, v37, v184
	v_dual_mul_f32 v17, v36, v184 :: v_dual_mul_f32 v20, v41, v201
	s_delay_alu instid0(VALU_DEP_3) | instskip(NEXT) | instid1(VALU_DEP_3)
	v_fmac_f32_e32 v8, v28, v190
	v_fma_f32 v9, v29, v190, -v9
	v_fma_f32 v5, v33, v181, -v5
	v_fmac_f32_e32 v6, v34, v188
	v_fmac_f32_e32 v16, v36, v183
	v_fma_f32 v17, v37, v183, -v17
	v_fmac_f32_e32 v18, v38, v198
	v_fma_f32 v19, v39, v198, -v19
	;; [unrolled: 2-line block ×3, first 2 shown]
	ds_store_2addr_b64 v12, v[8:9], v[10:11] offset0:42 offset1:123
	ds_store_2addr_b64 v13, v[4:5], v[6:7] offset0:76 offset1:157
	;; [unrolled: 1-line block ×3, first 2 shown]
	ds_store_b64 v212, v[20:21] offset:10368
	s_and_saveexec_b32 s3, vcc_lo
	s_cbranch_execz .LBB0_3
; %bb.2:
	v_mad_co_u64_u32 v[0:1], null, 0xffffd918, s8, v[0:1]
	s_mul_i32 s2, s9, 0xffffd918
	s_clause 0x3
	global_load_b64 v[8:9], v[173:174], off offset:408
	global_load_b64 v[10:11], v[173:174], off offset:1056
	;; [unrolled: 1-line block ×4, first 2 shown]
	s_wait_alu 0xfffe
	s_sub_co_i32 s2, s2, s8
	s_clause 0x3
	global_load_b64 v[22:23], v[173:174], off offset:3000
	global_load_b64 v[24:25], v[173:174], off offset:3648
	;; [unrolled: 1-line block ×4, first 2 shown]
	v_add_nc_u32_e32 v76, 0x400, v212
	v_add_nc_u32_e32 v77, 0x1400, v212
	s_wait_alu 0xfffe
	v_add_nc_u32_e32 v1, s2, v1
	v_add_co_u32 v4, s2, v0, s14
	s_wait_alu 0xf1ff
	s_delay_alu instid0(VALU_DEP_2) | instskip(NEXT) | instid1(VALU_DEP_2)
	v_add_co_ci_u32_e64 v5, s2, s15, v1, s2
	v_add_co_u32 v6, s2, v4, s14
	global_load_b64 v[0:1], v[0:1], off
	s_wait_alu 0xf1ff
	v_add_co_ci_u32_e64 v7, s2, s15, v5, s2
	v_add_co_u32 v20, s2, v6, s14
	global_load_b64 v[4:5], v[4:5], off
	s_wait_alu 0xf1ff
	;; [unrolled: 4-line block ×5, first 2 shown]
	v_add_co_ci_u32_e64 v35, s2, s15, v33, s2
	v_add_co_u32 v36, s2, v34, s14
	s_wait_alu 0xf1ff
	s_delay_alu instid0(VALU_DEP_2) | instskip(NEXT) | instid1(VALU_DEP_2)
	v_add_co_ci_u32_e64 v37, s2, s15, v35, s2
	v_add_co_u32 v38, s2, v36, s14
	s_wait_alu 0xf1ff
	s_delay_alu instid0(VALU_DEP_2) | instskip(NEXT) | instid1(VALU_DEP_2)
	v_add_co_ci_u32_e64 v39, s2, s15, v37, s2
	v_add_co_u32 v40, s2, v38, s14
	s_wait_alu 0xf1ff
	s_delay_alu instid0(VALU_DEP_2)
	v_add_co_ci_u32_e64 v41, s2, s15, v39, s2
	global_load_b64 v[32:33], v[32:33], off
	global_load_b64 v[34:35], v[34:35], off
	global_load_b64 v[36:37], v[36:37], off
	global_load_b64 v[38:39], v[38:39], off
	global_load_b64 v[42:43], v[40:41], off
	v_add_co_u32 v40, s2, v40, s14
	s_wait_alu 0xf1ff
	v_add_co_ci_u32_e64 v41, s2, s15, v41, s2
	s_clause 0x1
	global_load_b64 v[44:45], v[173:174], off offset:5592
	global_load_b64 v[46:47], v[173:174], off offset:6240
	v_add_co_u32 v48, s2, v40, s14
	s_wait_alu 0xf1ff
	v_add_co_ci_u32_e64 v49, s2, s15, v41, s2
	global_load_b64 v[40:41], v[40:41], off
	v_add_co_u32 v50, s2, v48, s14
	s_wait_alu 0xf1ff
	v_add_co_ci_u32_e64 v51, s2, s15, v49, s2
	global_load_b64 v[48:49], v[48:49], off
	v_add_co_u32 v52, s2, v50, s14
	s_wait_alu 0xf1ff
	v_add_co_ci_u32_e64 v53, s2, s15, v51, s2
	s_clause 0x1
	global_load_b64 v[54:55], v[173:174], off offset:6888
	global_load_b64 v[56:57], v[173:174], off offset:7536
	v_add_co_u32 v58, s2, v52, s14
	s_wait_alu 0xf1ff
	v_add_co_ci_u32_e64 v59, s2, s15, v53, s2
	global_load_b64 v[50:51], v[50:51], off
	global_load_b64 v[52:53], v[52:53], off
	s_clause 0x1
	global_load_b64 v[60:61], v[173:174], off offset:8184
	global_load_b64 v[62:63], v[173:174], off offset:8832
	global_load_b64 v[64:65], v[58:59], off
	v_add_co_u32 v58, s2, v58, s14
	s_wait_alu 0xf1ff
	v_add_co_ci_u32_e64 v59, s2, s15, v59, s2
	global_load_b64 v[66:67], v[173:174], off offset:9480
	v_add_co_u32 v68, s2, v58, s14
	s_wait_alu 0xf1ff
	v_add_co_ci_u32_e64 v69, s2, s15, v59, s2
	global_load_b64 v[58:59], v[58:59], off
	s_clause 0x1
	global_load_b64 v[70:71], v[173:174], off offset:10128
	global_load_b64 v[72:73], v[173:174], off offset:10776
	global_load_b64 v[68:69], v[68:69], off
	s_wait_loadcnt 0x19
	v_mul_f32_e32 v74, v1, v9
	v_mul_f32_e32 v75, v0, v9
	s_wait_loadcnt 0x18
	s_delay_alu instid0(VALU_DEP_2) | instskip(NEXT) | instid1(VALU_DEP_2)
	v_dual_mul_f32 v9, v5, v11 :: v_dual_fmac_f32 v74, v0, v8
	v_fma_f32 v75, v1, v8, -v75
	s_wait_loadcnt 0x17
	v_dual_mul_f32 v1, v4, v11 :: v_dual_mul_f32 v8, v6, v17
	s_delay_alu instid0(VALU_DEP_3) | instskip(NEXT) | instid1(VALU_DEP_2)
	v_dual_mul_f32 v0, v7, v17 :: v_dual_fmac_f32 v9, v4, v10
	v_fma_f32 v10, v5, v10, -v1
	s_wait_loadcnt 0x16
	v_mul_f32_e32 v4, v21, v19
	s_delay_alu instid0(VALU_DEP_3)
	v_dual_mul_f32 v11, v20, v19 :: v_dual_fmac_f32 v0, v6, v16
	v_fma_f32 v1, v7, v16, -v8
	ds_store_2addr_b64 v212, v[74:75], v[9:10] offset0:51 offset1:132
	s_wait_loadcnt 0x15
	v_dual_fmac_f32 v4, v20, v18 :: v_dual_mul_f32 v7, v30, v23
	v_fma_f32 v5, v21, v18, -v11
	v_mul_f32_e32 v6, v31, v23
	s_delay_alu instid0(VALU_DEP_3)
	v_fma_f32 v7, v31, v22, -v7
	ds_store_2addr_b64 v76, v[0:1], v[4:5] offset0:85 offset1:166
	s_wait_loadcnt 0x14
	v_mul_f32_e32 v1, v32, v25
	s_wait_loadcnt 0x13
	v_dual_mul_f32 v8, v33, v25 :: v_dual_mul_f32 v5, v34, v27
	v_mul_f32_e32 v0, v35, v27
	s_wait_loadcnt 0x12
	v_mul_f32_e32 v4, v37, v29
	v_mul_f32_e32 v10, v36, v29
	v_fmac_f32_e32 v6, v30, v22
	s_wait_loadcnt 0xf
	v_dual_fmac_f32 v8, v32, v24 :: v_dual_mul_f32 v11, v38, v45
	v_fma_f32 v9, v33, v24, -v1
	v_fmac_f32_e32 v0, v34, v26
	v_fma_f32 v1, v35, v26, -v5
	v_fmac_f32_e32 v4, v36, v28
	v_fma_f32 v11, v39, v44, -v11
	s_wait_loadcnt 0x6
	v_mul_f32_e32 v17, v52, v63
	v_mul_f32_e32 v16, v53, v63
	s_delay_alu instid0(VALU_DEP_2) | instskip(SKIP_2) | instid1(VALU_DEP_3)
	v_fma_f32 v17, v53, v62, -v17
	s_wait_loadcnt 0x4
	v_mul_f32_e32 v18, v65, v67
	v_fmac_f32_e32 v16, v52, v62
	v_mul_f32_e32 v19, v64, v67
	s_wait_loadcnt 0x2
	v_mul_f32_e32 v21, v58, v71
	v_fma_f32 v5, v37, v28, -v10
	v_mul_f32_e32 v10, v39, v45
	v_mul_f32_e32 v20, v59, v71
	s_wait_loadcnt 0x0
	v_mul_f32_e32 v22, v69, v73
	v_mul_f32_e32 v23, v68, v73
	ds_store_2addr_b64 v2, v[0:1], v[4:5] offset0:25 offset1:106
	v_mul_f32_e32 v1, v42, v47
	v_mul_f32_e32 v5, v40, v55
	ds_store_2addr_b64 v14, v[6:7], v[8:9] offset0:119 offset1:200
	v_dual_mul_f32 v9, v48, v57 :: v_dual_mul_f32 v6, v43, v47
	v_mul_f32_e32 v0, v41, v55
	v_mul_f32_e32 v4, v49, v57
	v_fma_f32 v7, v43, v46, -v1
	v_fma_f32 v1, v41, v54, -v5
	v_mul_f32_e32 v8, v51, v61
	v_fma_f32 v5, v49, v56, -v9
	v_mul_f32_e32 v9, v50, v61
	v_fmac_f32_e32 v10, v38, v44
	v_fmac_f32_e32 v6, v42, v46
	;; [unrolled: 1-line block ×5, first 2 shown]
	v_fma_f32 v9, v51, v60, -v9
	v_fmac_f32_e32 v18, v64, v66
	v_fma_f32 v19, v65, v66, -v19
	v_fmac_f32_e32 v20, v58, v70
	;; [unrolled: 2-line block ×3, first 2 shown]
	v_fma_f32 v23, v69, v72, -v23
	ds_store_2addr_b64 v77, v[10:11], v[6:7] offset0:59 offset1:140
	ds_store_2addr_b64 v12, v[0:1], v[4:5] offset0:93 offset1:174
	;; [unrolled: 1-line block ×4, first 2 shown]
	ds_store_b64 v212, v[22:23] offset:10776
.LBB0_3:
	s_wait_alu 0xfffe
	s_or_b32 exec_lo, exec_lo, s3
	global_wb scope:SCOPE_SE
	s_wait_storecnt_dscnt 0x0
	s_wait_kmcnt 0x0
	s_barrier_signal -1
	s_barrier_wait -1
	global_inv scope:SCOPE_SE
	ds_load_2addr_b64 v[4:7], v212 offset1:81
	ds_load_2addr_b64 v[8:11], v212 offset0:162 offset1:243
	ds_load_2addr_b64 v[48:51], v14 offset0:68 offset1:149
	;; [unrolled: 1-line block ×7, first 2 shown]
	ds_load_b64 v[66:67], v212 offset:10368
	s_load_b64 s[0:1], s[0:1], 0x8
	v_mov_b32_e32 v12, 0
	v_mov_b32_e32 v13, 0
                                        ; kill: def $vgpr14 killed $sgpr0 killed $exec
                                        ; implicit-def: $vgpr30
                                        ; implicit-def: $vgpr24
                                        ; implicit-def: $vgpr20
                                        ; implicit-def: $vgpr16
                                        ; implicit-def: $vgpr64
                                        ; implicit-def: $vgpr42
                                        ; implicit-def: $vgpr34
                                        ; implicit-def: $vgpr38
	s_and_saveexec_b32 s2, vcc_lo
	s_cbranch_execz .LBB0_5
; %bb.4:
	v_add_nc_u32_e32 v16, 0x400, v212
	v_add_nc_u32_e32 v17, 0x800, v212
	;; [unrolled: 1-line block ×3, first 2 shown]
	ds_load_2addr_b64 v[12:15], v212 offset0:51 offset1:132
	v_add_nc_u32_e32 v19, 0x1c00, v212
	ds_load_2addr_b64 v[36:39], v16 offset0:85 offset1:166
	ds_load_2addr_b64 v[32:35], v17 offset0:119 offset1:200
	v_add_nc_u32_e32 v16, 0x1400, v212
	v_add_nc_u32_e32 v17, 0x1800, v212
	;; [unrolled: 1-line block ×3, first 2 shown]
	ds_load_2addr_b64 v[40:43], v18 offset0:25 offset1:106
	ds_load_2addr_b64 v[28:31], v16 offset0:59 offset1:140
	;; [unrolled: 1-line block ×5, first 2 shown]
	ds_load_b64 v[64:65], v212 offset:10776
.LBB0_5:
	s_wait_alu 0xfffe
	s_or_b32 exec_lo, exec_lo, s2
	s_wait_dscnt 0x8
	v_dual_add_f32 v68, v4, v6 :: v_dual_add_f32 v69, v5, v7
	s_wait_dscnt 0x3
	v_dual_sub_f32 v70, v60, v58 :: v_dual_sub_f32 v71, v62, v56
	global_wb scope:SCOPE_SE
	s_wait_dscnt 0x0
	v_dual_add_f32 v68, v68, v8 :: v_dual_add_f32 v69, v69, v9
	s_wait_kmcnt 0x0
	s_barrier_signal -1
	s_barrier_wait -1
	global_inv scope:SCOPE_SE
	v_dual_add_f32 v68, v68, v10 :: v_dual_add_f32 v69, v69, v11
	v_sub_f32_e32 v90, v8, v46
	v_dual_sub_f32 v88, v10, v44 :: v_dual_mul_f32 v141, 0xbf06c442, v70
	s_delay_alu instid0(VALU_DEP_3) | instskip(NEXT) | instid1(VALU_DEP_1)
	v_dual_add_f32 v68, v68, v48 :: v_dual_add_f32 v69, v69, v49
	v_dual_mul_f32 v143, 0x3f4c4adb, v71 :: v_dual_add_f32 v68, v68, v50
	s_delay_alu instid0(VALU_DEP_1) | instskip(NEXT) | instid1(VALU_DEP_1)
	v_dual_add_f32 v69, v69, v51 :: v_dual_add_f32 v68, v68, v60
	v_add_f32_e32 v69, v69, v61
	s_delay_alu instid0(VALU_DEP_1)
	v_dual_add_f32 v73, v68, v62 :: v_dual_add_f32 v74, v69, v63
	v_dual_sub_f32 v69, v61, v59 :: v_dual_add_f32 v68, v58, v60
	v_dual_add_f32 v60, v59, v61 :: v_dual_add_f32 v61, v56, v62
	v_sub_f32_e32 v72, v63, v57
	v_add_f32_e32 v62, v57, v63
	v_add_f32_e32 v63, v73, v0
	v_dual_add_f32 v73, v74, v1 :: v_dual_sub_f32 v74, v49, v55
	v_mul_f32_e32 v140, 0xbf06c442, v69
	s_delay_alu instid0(VALU_DEP_3) | instskip(NEXT) | instid1(VALU_DEP_1)
	v_dual_mul_f32 v142, 0x3f4c4adb, v72 :: v_dual_add_f32 v63, v63, v2
	v_dual_add_f32 v73, v73, v3 :: v_dual_add_f32 v56, v63, v56
	s_delay_alu instid0(VALU_DEP_1) | instskip(NEXT) | instid1(VALU_DEP_1)
	v_dual_add_f32 v57, v73, v57 :: v_dual_add_f32 v58, v56, v58
	v_dual_add_f32 v75, v57, v59 :: v_dual_add_f32 v56, v55, v49
	v_sub_f32_e32 v63, v48, v54
	v_dual_add_f32 v57, v54, v48 :: v_dual_add_f32 v48, v52, v50
	v_sub_f32_e32 v59, v50, v52
	v_dual_add_f32 v50, v58, v52 :: v_dual_sub_f32 v73, v51, v53
	v_add_f32_e32 v49, v53, v51
	v_add_f32_e32 v51, v75, v53
	s_delay_alu instid0(VALU_DEP_3) | instskip(SKIP_1) | instid1(VALU_DEP_3)
	v_dual_mul_f32 v139, 0xbf65296c, v59 :: v_dual_add_f32 v52, v50, v54
	v_dual_sub_f32 v91, v9, v47 :: v_dual_add_f32 v50, v46, v8
	v_dual_add_f32 v8, v44, v10 :: v_dual_add_f32 v53, v51, v55
	s_delay_alu instid0(VALU_DEP_3) | instskip(NEXT) | instid1(VALU_DEP_1)
	v_dual_add_f32 v10, v52, v44 :: v_dual_add_f32 v51, v47, v9
	v_add_f32_e32 v54, v10, v46
	v_sub_f32_e32 v10, v7, v67
	v_sub_f32_e32 v89, v11, v45
	v_add_f32_e32 v9, v45, v11
	v_add_f32_e32 v11, v53, v45
	s_delay_alu instid0(VALU_DEP_4) | instskip(NEXT) | instid1(VALU_DEP_2)
	v_dual_add_f32 v7, v67, v7 :: v_dual_mul_f32 v52, 0xbf65296c, v10
	v_add_f32_e32 v75, v11, v47
	v_add_f32_e32 v11, v66, v6
	v_mul_f32_e32 v76, 0xbf763a35, v10
	v_mul_f32_e32 v44, 0xbeb8f4ab, v10
	v_sub_f32_e32 v6, v6, v66
	v_mul_f32_e32 v78, 0xbf4c4adb, v10
	v_fma_f32 v53, 0x3ee437d1, v11, -v52
	v_fmac_f32_e32 v52, 0x3ee437d1, v11
	v_fma_f32 v45, 0x3f6eb680, v11, -v44
	v_mul_f32_e32 v55, 0xbf7ee86f, v10
	v_fma_f32 v77, 0xbe8c1d8e, v11, -v76
	v_dual_add_f32 v107, v4, v53 :: v_dual_fmac_f32 v76, 0xbe8c1d8e, v11
	s_delay_alu instid0(VALU_DEP_4) | instskip(NEXT) | instid1(VALU_DEP_4)
	v_add_f32_e32 v112, v4, v45
	v_fma_f32 v58, 0x3dbcf732, v11, -v55
	v_fmac_f32_e32 v55, 0x3dbcf732, v11
	v_mul_f32_e32 v86, 0xbf65296c, v6
	v_mul_f32_e32 v46, 0xbf2c7751, v10
	;; [unrolled: 1-line block ×3, first 2 shown]
	s_delay_alu instid0(VALU_DEP_4) | instskip(NEXT) | instid1(VALU_DEP_4)
	v_dual_mul_f32 v84, 0xbf2c7751, v6 :: v_dual_add_f32 v53, v4, v55
	v_fmamk_f32 v87, v7, 0x3ee437d1, v86
	s_delay_alu instid0(VALU_DEP_4) | instskip(NEXT) | instid1(VALU_DEP_4)
	v_fma_f32 v47, 0x3f3d2fb0, v11, -v46
	v_fma_f32 v83, 0xbf7ba420, v11, -v80
	s_delay_alu instid0(VALU_DEP_4) | instskip(SKIP_2) | instid1(VALU_DEP_3)
	v_fmamk_f32 v85, v7, 0x3f3d2fb0, v84
	v_mul_f32_e32 v96, 0xbf4c4adb, v6
	v_dual_mul_f32 v97, 0xbf06c442, v6 :: v_dual_add_f32 v106, v5, v87
	v_dual_mul_f32 v79, 0xbf06c442, v10 :: v_dual_add_f32 v108, v5, v85
	;; [unrolled: 1-line block ×3, first 2 shown]
	v_fmac_f32_e32 v46, 0x3f3d2fb0, v11
	v_fmac_f32_e32 v44, 0x3f6eb680, v11
	v_fma_f32 v81, 0xbf1a4643, v11, -v78
	v_dual_fmac_f32 v78, 0xbf1a4643, v11 :: v_dual_add_f32 v105, v4, v58
	v_fma_f32 v82, 0xbf59a7d5, v11, -v79
	v_fmac_f32_e32 v79, 0xbf59a7d5, v11
	v_dual_fmac_f32 v80, 0xbf7ba420, v11 :: v_dual_add_f32 v103, v4, v77
	v_fma_f32 v84, 0x3f3d2fb0, v7, -v84
	v_fmamk_f32 v11, v7, 0x3f6eb680, v10
	v_fma_f32 v10, 0x3f6eb680, v7, -v10
	v_fma_f32 v86, 0x3ee437d1, v7, -v86
	v_dual_mul_f32 v92, 0xbf7ee86f, v6 :: v_dual_add_f32 v99, v4, v81
	v_dual_fmamk_f32 v98, v7, 0xbf1a4643, v96 :: v_dual_add_f32 v87, v4, v78
	v_fma_f32 v96, 0xbf1a4643, v7, -v96
	v_fma_f32 v101, 0xbf59a7d5, v7, -v97
	v_mul_f32_e32 v94, 0xbf763a35, v6
	v_mul_f32_e32 v6, 0xbe3c28d5, v6
	v_fmamk_f32 v93, v7, 0x3dbcf732, v92
	v_fma_f32 v92, 0x3dbcf732, v7, -v92
	v_dual_fmamk_f32 v100, v7, 0xbf59a7d5, v97 :: v_dual_add_f32 v97, v4, v82
	s_delay_alu instid0(VALU_DEP_4)
	v_fmamk_f32 v110, v7, 0xbf7ba420, v6
	v_fma_f32 v111, 0xbf7ba420, v7, -v6
	v_add_f32_e32 v6, v5, v10
	v_add_f32_e32 v10, v5, v86
	v_dual_add_f32 v86, v5, v96 :: v_dual_mul_f32 v77, 0xbf2c7751, v90
	v_add_f32_e32 v55, v5, v101
	v_fmamk_f32 v95, v7, 0xbe8c1d8e, v94
	v_fma_f32 v94, 0xbe8c1d8e, v7, -v94
	v_add_f32_e32 v45, v4, v46
	v_add_f32_e32 v7, v4, v44
	;; [unrolled: 1-line block ×7, first 2 shown]
	v_dual_add_f32 v102, v5, v95 :: v_dual_add_f32 v47, v4, v76
	v_add_f32_e32 v46, v5, v94
	v_add_f32_e32 v98, v5, v98
	;; [unrolled: 1-line block ×5, first 2 shown]
	v_dual_add_f32 v93, v4, v80 :: v_dual_sub_f32 v100, v1, v3
	v_sub_f32_e32 v101, v0, v2
	v_dual_add_f32 v94, v5, v110 :: v_dual_mul_f32 v79, 0xbf65296c, v88
	v_add_f32_e32 v4, v54, v66
	v_dual_add_f32 v54, v2, v0 :: v_dual_mul_f32 v81, 0xbf7ee86f, v63
	v_add_f32_e32 v2, v3, v1
	v_mul_f32_e32 v66, 0xbf2c7751, v91
	v_fmamk_f32 v1, v51, 0x3f3d2fb0, v77
	v_mul_f32_e32 v82, 0xbf763a35, v59
	v_mul_f32_e32 v76, 0xbf763a35, v73
	;; [unrolled: 1-line block ×3, first 2 shown]
	v_fma_f32 v0, 0x3f3d2fb0, v50, -v66
	v_add_f32_e32 v1, v1, v113
	v_add_f32_e32 v92, v5, v111
	v_add_f32_e32 v5, v75, v67
	s_delay_alu instid0(VALU_DEP_4) | instskip(SKIP_3) | instid1(VALU_DEP_4)
	v_dual_mul_f32 v67, 0xbf65296c, v89 :: v_dual_add_f32 v0, v0, v112
	v_mul_f32_e32 v75, 0xbf7ee86f, v74
	v_mul_f32_e32 v78, 0xbf4c4adb, v69
	;; [unrolled: 1-line block ×3, first 2 shown]
	v_fma_f32 v3, 0x3ee437d1, v8, -v67
	v_mul_f32_e32 v80, 0xbf06c442, v72
	v_mul_f32_e32 v124, 0x3eb8f4ab, v101
	v_dual_mul_f32 v137, 0xbf06c442, v100 :: v_dual_mul_f32 v138, 0xbf06c442, v101
	s_delay_alu instid0(VALU_DEP_4)
	v_dual_add_f32 v0, v3, v0 :: v_dual_fmamk_f32 v3, v9, 0x3ee437d1, v79
	v_mul_f32_e32 v144, 0x3f2c7751, v100
	v_mul_f32_e32 v146, 0x3f06c442, v91
	v_mul_f32_e32 v172, 0x3f65296c, v101
	v_mul_f32_e32 v226, 0xbf763a35, v101
	v_add_f32_e32 v1, v3, v1
	v_fma_f32 v3, 0x3dbcf732, v57, -v75
	v_mul_f32_e32 v145, 0x3f2c7751, v101
	v_mul_f32_e32 v171, 0x3f65296c, v100
	;; [unrolled: 1-line block ×3, first 2 shown]
	v_fmac_f32_e32 v67, 0x3ee437d1, v8
	v_dual_add_f32 v0, v3, v0 :: v_dual_fmamk_f32 v3, v56, 0x3dbcf732, v81
	v_fmac_f32_e32 v75, 0x3dbcf732, v57
	s_delay_alu instid0(VALU_DEP_2) | instskip(SKIP_2) | instid1(VALU_DEP_2)
	v_add_f32_e32 v1, v3, v1
	v_fma_f32 v3, 0xbe8c1d8e, v48, -v76
	v_fmac_f32_e32 v66, 0x3f3d2fb0, v50
	v_dual_add_f32 v0, v3, v0 :: v_dual_fmamk_f32 v3, v49, 0xbe8c1d8e, v82
	s_delay_alu instid0(VALU_DEP_1) | instskip(SKIP_1) | instid1(VALU_DEP_1)
	v_add_f32_e32 v1, v3, v1
	v_fma_f32 v3, 0xbf1a4643, v68, -v78
	v_dual_add_f32 v0, v3, v0 :: v_dual_fmamk_f32 v3, v60, 0xbf1a4643, v83
	s_delay_alu instid0(VALU_DEP_1) | instskip(SKIP_1) | instid1(VALU_DEP_1)
	v_add_f32_e32 v1, v3, v1
	v_fma_f32 v3, 0xbf59a7d5, v61, -v80
	v_dual_add_f32 v0, v3, v0 :: v_dual_fmamk_f32 v3, v62, 0xbf59a7d5, v84
	s_delay_alu instid0(VALU_DEP_1) | instskip(SKIP_1) | instid1(VALU_DEP_1)
	v_add_f32_e32 v1, v3, v1
	v_mul_f32_e32 v3, 0xbe3c28d5, v100
	v_fma_f32 v85, 0xbf7ba420, v54, -v3
	s_delay_alu instid0(VALU_DEP_1) | instskip(NEXT) | instid1(VALU_DEP_1)
	v_dual_add_f32 v0, v85, v0 :: v_dual_mul_f32 v85, 0xbe3c28d5, v101
	v_fmamk_f32 v110, v2, 0xbf7ba420, v85
	s_delay_alu instid0(VALU_DEP_1) | instskip(NEXT) | instid1(VALU_DEP_1)
	v_dual_add_f32 v1, v110, v1 :: v_dual_mul_f32 v110, 0xbf7ee86f, v91
	v_fma_f32 v111, 0x3dbcf732, v50, -v110
	s_delay_alu instid0(VALU_DEP_1) | instskip(SKIP_2) | instid1(VALU_DEP_1)
	v_add_f32_e32 v109, v111, v109
	v_mul_f32_e32 v111, 0xbf7ee86f, v90
	v_fmac_f32_e32 v110, 0x3dbcf732, v50
	v_dual_fmamk_f32 v112, v51, 0x3dbcf732, v111 :: v_dual_add_f32 v45, v110, v45
	s_delay_alu instid0(VALU_DEP_1) | instskip(SKIP_1) | instid1(VALU_DEP_1)
	v_add_f32_e32 v108, v112, v108
	v_mul_f32_e32 v112, 0xbf4c4adb, v89
	v_fma_f32 v113, 0xbf1a4643, v8, -v112
	s_delay_alu instid0(VALU_DEP_1) | instskip(SKIP_2) | instid1(VALU_DEP_2)
	v_add_f32_e32 v109, v113, v109
	v_mul_f32_e32 v113, 0xbf4c4adb, v88
	v_fmac_f32_e32 v78, 0xbf1a4643, v68
	v_fmamk_f32 v114, v9, 0xbf1a4643, v113
	s_delay_alu instid0(VALU_DEP_1) | instskip(SKIP_2) | instid1(VALU_DEP_2)
	v_add_f32_e32 v108, v114, v108
	v_mul_f32_e32 v114, 0xbe3c28d5, v74
	v_fmac_f32_e32 v3, 0xbf7ba420, v54
	v_fma_f32 v115, 0xbf7ba420, v57, -v114
	v_fmac_f32_e32 v114, 0xbf7ba420, v57
	s_delay_alu instid0(VALU_DEP_2) | instskip(SKIP_1) | instid1(VALU_DEP_1)
	v_add_f32_e32 v109, v115, v109
	v_mul_f32_e32 v115, 0xbe3c28d5, v63
	v_fmamk_f32 v116, v56, 0xbf7ba420, v115
	s_delay_alu instid0(VALU_DEP_1) | instskip(SKIP_1) | instid1(VALU_DEP_1)
	v_add_f32_e32 v108, v116, v108
	v_mul_f32_e32 v116, 0x3f06c442, v73
	v_fma_f32 v117, 0xbf59a7d5, v48, -v116
	s_delay_alu instid0(VALU_DEP_1) | instskip(SKIP_1) | instid1(VALU_DEP_1)
	v_add_f32_e32 v109, v117, v109
	v_mul_f32_e32 v117, 0x3f06c442, v59
	v_fmamk_f32 v118, v49, 0xbf59a7d5, v117
	s_delay_alu instid0(VALU_DEP_1) | instskip(SKIP_1) | instid1(VALU_DEP_1)
	v_add_f32_e32 v108, v118, v108
	v_mul_f32_e32 v118, 0x3f763a35, v69
	v_fma_f32 v119, 0xbe8c1d8e, v68, -v118
	s_delay_alu instid0(VALU_DEP_1) | instskip(SKIP_1) | instid1(VALU_DEP_1)
	v_add_f32_e32 v109, v119, v109
	v_mul_f32_e32 v119, 0x3f763a35, v70
	v_fmamk_f32 v120, v60, 0xbe8c1d8e, v119
	s_delay_alu instid0(VALU_DEP_1) | instskip(SKIP_1) | instid1(VALU_DEP_1)
	v_add_f32_e32 v108, v120, v108
	v_mul_f32_e32 v120, 0x3f65296c, v72
	v_fma_f32 v121, 0x3ee437d1, v61, -v120
	s_delay_alu instid0(VALU_DEP_1) | instskip(SKIP_2) | instid1(VALU_DEP_2)
	v_add_f32_e32 v109, v121, v109
	v_mul_f32_e32 v121, 0x3f65296c, v71
	v_mul_f32_e32 v123, 0x3eb8f4ab, v100
	v_fmamk_f32 v122, v62, 0x3ee437d1, v121
	s_delay_alu instid0(VALU_DEP_1) | instskip(NEXT) | instid1(VALU_DEP_3)
	v_add_f32_e32 v122, v122, v108
	v_fma_f32 v108, 0x3f6eb680, v54, -v123
	s_delay_alu instid0(VALU_DEP_1) | instskip(SKIP_1) | instid1(VALU_DEP_2)
	v_dual_add_f32 v108, v108, v109 :: v_dual_fmamk_f32 v109, v2, 0x3f6eb680, v124
	v_fmac_f32_e32 v123, 0x3f6eb680, v54
	v_dual_add_f32 v109, v109, v122 :: v_dual_mul_f32 v122, 0xbf4c4adb, v91
	v_fmac_f32_e32 v76, 0xbe8c1d8e, v48
	s_delay_alu instid0(VALU_DEP_2) | instskip(NEXT) | instid1(VALU_DEP_1)
	v_fma_f32 v125, 0xbf1a4643, v50, -v122
	v_add_f32_e32 v107, v125, v107
	v_mul_f32_e32 v125, 0xbf4c4adb, v90
	v_fmac_f32_e32 v112, 0xbf1a4643, v8
	s_delay_alu instid0(VALU_DEP_1) | instskip(NEXT) | instid1(VALU_DEP_1)
	v_dual_fmamk_f32 v126, v51, 0xbf1a4643, v125 :: v_dual_add_f32 v45, v112, v45
	v_add_f32_e32 v106, v126, v106
	v_mul_f32_e32 v126, 0x3e3c28d5, v89
	s_delay_alu instid0(VALU_DEP_3) | instskip(NEXT) | instid1(VALU_DEP_2)
	v_add_f32_e32 v45, v114, v45
	v_fma_f32 v127, 0xbf7ba420, v8, -v126
	s_delay_alu instid0(VALU_DEP_1) | instskip(SKIP_2) | instid1(VALU_DEP_1)
	v_add_f32_e32 v107, v127, v107
	v_mul_f32_e32 v127, 0x3e3c28d5, v88
	v_fmac_f32_e32 v116, 0xbf59a7d5, v48
	v_dual_fmamk_f32 v128, v9, 0xbf7ba420, v127 :: v_dual_add_f32 v45, v116, v45
	s_delay_alu instid0(VALU_DEP_1) | instskip(SKIP_1) | instid1(VALU_DEP_1)
	v_add_f32_e32 v106, v128, v106
	v_mul_f32_e32 v128, 0x3f763a35, v74
	v_fma_f32 v129, 0xbe8c1d8e, v57, -v128
	s_delay_alu instid0(VALU_DEP_1) | instskip(SKIP_3) | instid1(VALU_DEP_1)
	v_add_f32_e32 v107, v129, v107
	v_mul_f32_e32 v129, 0x3f763a35, v63
	v_fmac_f32_e32 v128, 0xbe8c1d8e, v57
	v_fmac_f32_e32 v118, 0xbe8c1d8e, v68
	v_dual_fmamk_f32 v130, v56, 0xbe8c1d8e, v129 :: v_dual_add_f32 v45, v118, v45
	s_delay_alu instid0(VALU_DEP_1) | instskip(SKIP_1) | instid1(VALU_DEP_1)
	v_add_f32_e32 v106, v130, v106
	v_mul_f32_e32 v130, 0x3f2c7751, v73
	v_fma_f32 v131, 0x3f3d2fb0, v48, -v130
	s_delay_alu instid0(VALU_DEP_1) | instskip(SKIP_1) | instid1(VALU_DEP_1)
	v_add_f32_e32 v107, v131, v107
	v_mul_f32_e32 v131, 0x3f2c7751, v59
	v_fmamk_f32 v132, v49, 0x3f3d2fb0, v131
	s_delay_alu instid0(VALU_DEP_1) | instskip(SKIP_1) | instid1(VALU_DEP_1)
	v_add_f32_e32 v106, v132, v106
	v_mul_f32_e32 v132, 0xbeb8f4ab, v69
	v_fma_f32 v133, 0x3f6eb680, v68, -v132
	s_delay_alu instid0(VALU_DEP_1) | instskip(SKIP_2) | instid1(VALU_DEP_2)
	v_add_f32_e32 v107, v133, v107
	v_mul_f32_e32 v133, 0xbeb8f4ab, v70
	v_fmac_f32_e32 v132, 0x3f6eb680, v68
	v_fmamk_f32 v134, v60, 0x3f6eb680, v133
	s_delay_alu instid0(VALU_DEP_1) | instskip(SKIP_1) | instid1(VALU_DEP_1)
	v_add_f32_e32 v106, v134, v106
	v_mul_f32_e32 v134, 0xbf7ee86f, v72
	v_fma_f32 v135, 0x3dbcf732, v61, -v134
	s_delay_alu instid0(VALU_DEP_1) | instskip(SKIP_2) | instid1(VALU_DEP_2)
	v_add_f32_e32 v107, v135, v107
	v_mul_f32_e32 v135, 0xbf7ee86f, v71
	v_fmac_f32_e32 v120, 0x3ee437d1, v61
	v_fmamk_f32 v136, v62, 0x3dbcf732, v135
	s_delay_alu instid0(VALU_DEP_1) | instskip(SKIP_1) | instid1(VALU_DEP_1)
	v_add_f32_e32 v136, v136, v106
	v_fma_f32 v106, 0xbf59a7d5, v54, -v137
	v_dual_fmac_f32 v137, 0xbf59a7d5, v54 :: v_dual_add_f32 v106, v106, v107
	v_fmamk_f32 v107, v2, 0xbf59a7d5, v138
	s_delay_alu instid0(VALU_DEP_1) | instskip(SKIP_1) | instid1(VALU_DEP_1)
	v_add_f32_e32 v107, v107, v136
	v_mul_lo_u16 v136, v197, 17
	v_and_b32_e32 v136, 0xffff, v136
	s_delay_alu instid0(VALU_DEP_1)
	v_lshlrev_b32_e32 v215, 3, v136
	ds_store_2addr_b64 v215, v[4:5], v[0:1] offset1:1
	ds_store_2addr_b64 v215, v[108:109], v[106:107] offset0:2 offset1:3
	v_mul_f32_e32 v106, 0xbe3c28d5, v91
	v_mul_f32_e32 v107, 0x3f763a35, v88
	v_dual_mul_f32 v108, 0x3eb8f4ab, v74 :: v_dual_mul_f32 v109, 0x3eb8f4ab, v63
	v_mul_f32_e32 v136, 0xbf65296c, v73
	s_delay_alu instid0(VALU_DEP_4) | instskip(NEXT) | instid1(VALU_DEP_1)
	v_fma_f32 v0, 0xbf7ba420, v50, -v106
	v_dual_add_f32 v0, v0, v105 :: v_dual_mul_f32 v105, 0xbe3c28d5, v90
	s_delay_alu instid0(VALU_DEP_1) | instskip(NEXT) | instid1(VALU_DEP_1)
	v_fmamk_f32 v1, v51, 0xbf7ba420, v105
	v_dual_add_f32 v1, v1, v104 :: v_dual_mul_f32 v104, 0x3f763a35, v89
	v_fmac_f32_e32 v122, 0xbf1a4643, v50
	s_delay_alu instid0(VALU_DEP_2) | instskip(NEXT) | instid1(VALU_DEP_2)
	v_fma_f32 v4, 0xbe8c1d8e, v8, -v104
	v_dual_add_f32 v11, v122, v11 :: v_dual_fmac_f32 v104, 0xbe8c1d8e, v8
	s_delay_alu instid0(VALU_DEP_2) | instskip(SKIP_1) | instid1(VALU_DEP_1)
	v_add_f32_e32 v0, v4, v0
	v_fmamk_f32 v4, v9, 0xbe8c1d8e, v107
	v_add_f32_e32 v1, v4, v1
	v_fma_f32 v4, 0x3f6eb680, v57, -v108
	s_delay_alu instid0(VALU_DEP_1) | instskip(SKIP_1) | instid1(VALU_DEP_1)
	v_add_f32_e32 v0, v4, v0
	v_fmamk_f32 v4, v56, 0x3f6eb680, v109
	v_add_f32_e32 v1, v4, v1
	v_fma_f32 v4, 0x3ee437d1, v48, -v136
	s_delay_alu instid0(VALU_DEP_1) | instskip(SKIP_1) | instid1(VALU_DEP_1)
	;; [unrolled: 5-line block ×3, first 2 shown]
	v_add_f32_e32 v0, v4, v0
	v_fmamk_f32 v4, v60, 0xbf59a7d5, v141
	v_add_f32_e32 v1, v4, v1
	v_fma_f32 v4, 0xbf1a4643, v61, -v142
	v_fmac_f32_e32 v134, 0x3dbcf732, v61
	s_delay_alu instid0(VALU_DEP_2) | instskip(SKIP_1) | instid1(VALU_DEP_1)
	v_add_f32_e32 v0, v4, v0
	v_fmamk_f32 v4, v62, 0xbf1a4643, v143
	v_add_f32_e32 v1, v4, v1
	v_fma_f32 v4, 0x3f3d2fb0, v54, -v144
	s_delay_alu instid0(VALU_DEP_1) | instskip(SKIP_1) | instid1(VALU_DEP_1)
	v_add_f32_e32 v0, v4, v0
	v_fmamk_f32 v4, v2, 0x3f3d2fb0, v145
	v_add_f32_e32 v1, v4, v1
	v_fma_f32 v4, 0xbf59a7d5, v50, -v146
	s_delay_alu instid0(VALU_DEP_1) | instskip(NEXT) | instid1(VALU_DEP_1)
	v_dual_add_f32 v4, v4, v103 :: v_dual_mul_f32 v103, 0x3f06c442, v90
	v_fmamk_f32 v5, v51, 0xbf59a7d5, v103
	s_delay_alu instid0(VALU_DEP_1) | instskip(SKIP_1) | instid1(VALU_DEP_2)
	v_dual_add_f32 v5, v5, v102 :: v_dual_mul_f32 v102, 0x3f2c7751, v89
	v_fmac_f32_e32 v126, 0xbf7ba420, v8
	v_fma_f32 v147, 0x3f3d2fb0, v8, -v102
	s_delay_alu instid0(VALU_DEP_1) | instskip(SKIP_1) | instid1(VALU_DEP_2)
	v_dual_add_f32 v11, v126, v11 :: v_dual_add_f32 v4, v147, v4
	v_mul_f32_e32 v147, 0x3f2c7751, v88
	v_dual_add_f32 v11, v128, v11 :: v_dual_fmac_f32 v130, 0x3f3d2fb0, v48
	s_delay_alu instid0(VALU_DEP_1) | instskip(SKIP_2) | instid1(VALU_DEP_3)
	v_dual_fmamk_f32 v148, v9, 0x3f3d2fb0, v147 :: v_dual_add_f32 v11, v130, v11
	v_sub_f32_e32 v130, v29, v31
	v_sub_f32_e32 v126, v43, v25
	v_dual_add_f32 v5, v148, v5 :: v_dual_mul_f32 v148, 0xbf65296c, v74
	s_delay_alu instid0(VALU_DEP_4) | instskip(SKIP_1) | instid1(VALU_DEP_3)
	v_dual_add_f32 v11, v132, v11 :: v_dual_fmac_f32 v106, 0xbf7ba420, v50
	v_sub_f32_e32 v132, v40, v26
	v_fma_f32 v149, 0x3ee437d1, v57, -v148
	s_delay_alu instid0(VALU_DEP_3) | instskip(SKIP_1) | instid1(VALU_DEP_3)
	v_add_f32_e32 v11, v134, v11
	v_add_f32_e32 v134, v65, v15
	v_dual_add_f32 v4, v149, v4 :: v_dual_mul_f32 v149, 0xbf65296c, v63
	s_delay_alu instid0(VALU_DEP_1) | instskip(NEXT) | instid1(VALU_DEP_1)
	v_fmamk_f32 v150, v56, 0x3ee437d1, v149
	v_add_f32_e32 v5, v150, v5
	v_mul_f32_e32 v150, 0xbe3c28d5, v73
	s_delay_alu instid0(VALU_DEP_1) | instskip(NEXT) | instid1(VALU_DEP_1)
	v_fma_f32 v151, 0xbf7ba420, v48, -v150
	v_dual_add_f32 v4, v151, v4 :: v_dual_mul_f32 v151, 0xbe3c28d5, v59
	s_delay_alu instid0(VALU_DEP_1) | instskip(NEXT) | instid1(VALU_DEP_1)
	v_fmamk_f32 v152, v49, 0xbf7ba420, v151
	v_add_f32_e32 v5, v152, v5
	v_mul_f32_e32 v152, 0x3f7ee86f, v69
	s_delay_alu instid0(VALU_DEP_1) | instskip(NEXT) | instid1(VALU_DEP_1)
	v_fma_f32 v153, 0x3dbcf732, v68, -v152
	v_dual_add_f32 v4, v153, v4 :: v_dual_mul_f32 v153, 0x3f7ee86f, v70
	s_delay_alu instid0(VALU_DEP_1) | instskip(NEXT) | instid1(VALU_DEP_1)
	v_fmamk_f32 v154, v60, 0x3dbcf732, v153
	v_dual_add_f32 v5, v154, v5 :: v_dual_mul_f32 v154, 0xbeb8f4ab, v72
	s_delay_alu instid0(VALU_DEP_1) | instskip(NEXT) | instid1(VALU_DEP_1)
	v_fma_f32 v155, 0x3f6eb680, v61, -v154
	v_dual_add_f32 v4, v155, v4 :: v_dual_mul_f32 v155, 0xbeb8f4ab, v71
	s_delay_alu instid0(VALU_DEP_1) | instskip(NEXT) | instid1(VALU_DEP_1)
	v_fmamk_f32 v156, v62, 0x3f6eb680, v155
	v_dual_add_f32 v5, v156, v5 :: v_dual_mul_f32 v156, 0xbf4c4adb, v100
	s_delay_alu instid0(VALU_DEP_1) | instskip(NEXT) | instid1(VALU_DEP_1)
	v_fma_f32 v157, 0xbf1a4643, v54, -v156
	v_dual_add_f32 v4, v157, v4 :: v_dual_mul_f32 v157, 0xbf4c4adb, v101
	s_delay_alu instid0(VALU_DEP_1) | instskip(NEXT) | instid1(VALU_DEP_1)
	v_fmamk_f32 v158, v2, 0xbf1a4643, v157
	v_dual_add_f32 v5, v158, v5 :: v_dual_mul_f32 v158, 0x3f763a35, v91
	s_delay_alu instid0(VALU_DEP_1) | instskip(NEXT) | instid1(VALU_DEP_1)
	v_fma_f32 v159, 0xbe8c1d8e, v50, -v158
	v_add_f32_e32 v99, v159, v99
	v_mul_f32_e32 v159, 0x3f763a35, v90
	s_delay_alu instid0(VALU_DEP_1) | instskip(NEXT) | instid1(VALU_DEP_1)
	v_fmamk_f32 v160, v51, 0xbe8c1d8e, v159
	v_add_f32_e32 v98, v160, v98
	v_mul_f32_e32 v160, 0xbeb8f4ab, v89
	s_delay_alu instid0(VALU_DEP_1) | instskip(NEXT) | instid1(VALU_DEP_1)
	v_fma_f32 v161, 0x3f6eb680, v8, -v160
	v_add_f32_e32 v99, v161, v99
	v_mul_f32_e32 v161, 0xbeb8f4ab, v88
	v_fmac_f32_e32 v140, 0xbf59a7d5, v68
	s_delay_alu instid0(VALU_DEP_2) | instskip(NEXT) | instid1(VALU_DEP_1)
	v_fmamk_f32 v162, v9, 0x3f6eb680, v161
	v_add_f32_e32 v98, v162, v98
	v_mul_f32_e32 v162, 0xbf06c442, v74
	s_delay_alu instid0(VALU_DEP_1) | instskip(NEXT) | instid1(VALU_DEP_1)
	v_fma_f32 v163, 0xbf59a7d5, v57, -v162
	v_add_f32_e32 v99, v163, v99
	v_mul_f32_e32 v163, 0xbf06c442, v63
	s_delay_alu instid0(VALU_DEP_1) | instskip(NEXT) | instid1(VALU_DEP_1)
	v_fmamk_f32 v164, v56, 0xbf59a7d5, v163
	v_add_f32_e32 v98, v164, v98
	v_mul_f32_e32 v164, 0x3f7ee86f, v73
	s_delay_alu instid0(VALU_DEP_1) | instskip(NEXT) | instid1(VALU_DEP_1)
	v_fma_f32 v165, 0x3dbcf732, v48, -v164
	v_add_f32_e32 v99, v165, v99
	v_mul_f32_e32 v165, 0x3f7ee86f, v59
	v_fmac_f32_e32 v142, 0xbf1a4643, v61
	v_fmac_f32_e32 v152, 0x3dbcf732, v68
	s_delay_alu instid0(VALU_DEP_3) | instskip(NEXT) | instid1(VALU_DEP_1)
	v_fmamk_f32 v166, v49, 0x3dbcf732, v165
	v_add_f32_e32 v98, v166, v98
	v_mul_f32_e32 v166, 0xbf2c7751, v69
	s_delay_alu instid0(VALU_DEP_1) | instskip(NEXT) | instid1(VALU_DEP_1)
	v_fma_f32 v167, 0x3f3d2fb0, v68, -v166
	v_add_f32_e32 v99, v167, v99
	v_mul_f32_e32 v167, 0xbf2c7751, v70
	s_delay_alu instid0(VALU_DEP_1) | instskip(NEXT) | instid1(VALU_DEP_1)
	v_fmamk_f32 v168, v60, 0x3f3d2fb0, v167
	v_add_f32_e32 v98, v168, v98
	v_mul_f32_e32 v168, 0xbe3c28d5, v72
	s_delay_alu instid0(VALU_DEP_1) | instskip(NEXT) | instid1(VALU_DEP_1)
	v_fma_f32 v169, 0xbf7ba420, v61, -v168
	v_add_f32_e32 v99, v169, v99
	v_mul_f32_e32 v169, 0xbe3c28d5, v71
	v_fmac_f32_e32 v150, 0xbf7ba420, v48
	v_fmac_f32_e32 v144, 0x3f3d2fb0, v54
	s_delay_alu instid0(VALU_DEP_3) | instskip(NEXT) | instid1(VALU_DEP_1)
	v_fmamk_f32 v170, v62, 0xbf7ba420, v169
	v_add_f32_e32 v170, v170, v98
	v_fma_f32 v98, 0x3ee437d1, v54, -v171
	s_delay_alu instid0(VALU_DEP_1) | instskip(SKIP_1) | instid1(VALU_DEP_1)
	v_dual_fmac_f32 v171, 0x3ee437d1, v54 :: v_dual_add_f32 v98, v98, v99
	v_fmamk_f32 v99, v2, 0x3ee437d1, v172
	v_dual_add_f32 v99, v99, v170 :: v_dual_mul_f32 v170, 0x3f65296c, v91
	s_delay_alu instid0(VALU_DEP_1) | instskip(NEXT) | instid1(VALU_DEP_1)
	v_fma_f32 v210, 0x3ee437d1, v50, -v170
	v_dual_add_f32 v97, v210, v97 :: v_dual_mul_f32 v210, 0x3f65296c, v90
	v_fmac_f32_e32 v146, 0xbf59a7d5, v50
	s_delay_alu instid0(VALU_DEP_2) | instskip(NEXT) | instid1(VALU_DEP_1)
	v_fmamk_f32 v211, v51, 0x3ee437d1, v210
	v_dual_add_f32 v96, v211, v96 :: v_dual_mul_f32 v211, 0xbf7ee86f, v89
	v_mul_f32_e32 v89, 0xbf06c442, v89
	v_fmac_f32_e32 v162, 0xbf59a7d5, v57
	s_delay_alu instid0(VALU_DEP_3) | instskip(SKIP_1) | instid1(VALU_DEP_2)
	v_fma_f32 v214, 0x3dbcf732, v8, -v211
	v_fmac_f32_e32 v211, 0x3dbcf732, v8
	v_dual_add_f32 v97, v214, v97 :: v_dual_mul_f32 v214, 0xbf7ee86f, v88
	s_delay_alu instid0(VALU_DEP_1) | instskip(NEXT) | instid1(VALU_DEP_1)
	v_fmamk_f32 v216, v9, 0x3dbcf732, v214
	v_add_f32_e32 v96, v216, v96
	v_mul_f32_e32 v216, 0x3f4c4adb, v74
	v_mul_f32_e32 v74, 0x3f2c7751, v74
	s_delay_alu instid0(VALU_DEP_2) | instskip(NEXT) | instid1(VALU_DEP_1)
	v_fma_f32 v217, 0xbf1a4643, v57, -v216
	v_add_f32_e32 v97, v217, v97
	v_mul_f32_e32 v217, 0x3f4c4adb, v63
	v_mul_f32_e32 v63, 0x3f2c7751, v63
	v_fmac_f32_e32 v148, 0x3ee437d1, v57
	s_delay_alu instid0(VALU_DEP_3) | instskip(NEXT) | instid1(VALU_DEP_1)
	v_fmamk_f32 v218, v56, 0xbf1a4643, v217
	v_add_f32_e32 v96, v218, v96
	v_mul_f32_e32 v218, 0xbeb8f4ab, v73
	v_mul_f32_e32 v73, 0xbf4c4adb, v73
	s_delay_alu instid0(VALU_DEP_2) | instskip(NEXT) | instid1(VALU_DEP_1)
	v_fma_f32 v219, 0x3f6eb680, v48, -v218
	v_add_f32_e32 v97, v219, v97
	v_mul_f32_e32 v219, 0xbeb8f4ab, v59
	v_mul_f32_e32 v59, 0xbf4c4adb, v59
	v_fmac_f32_e32 v154, 0x3f6eb680, v61
	s_delay_alu instid0(VALU_DEP_3) | instskip(NEXT) | instid1(VALU_DEP_1)
	v_fmamk_f32 v220, v49, 0x3f6eb680, v219
	v_add_f32_e32 v96, v220, v96
	v_mul_f32_e32 v220, 0xbe3c28d5, v69
	v_mul_f32_e32 v69, 0x3f65296c, v69
	v_fmac_f32_e32 v170, 0x3ee437d1, v50
	s_delay_alu instid0(VALU_DEP_3) | instskip(NEXT) | instid1(VALU_DEP_1)
	v_fma_f32 v221, 0xbf7ba420, v68, -v220
	v_dual_add_f32 v58, v170, v58 :: v_dual_add_f32 v97, v221, v97
	v_mul_f32_e32 v221, 0xbe3c28d5, v70
	v_fmac_f32_e32 v168, 0xbf7ba420, v61
	v_mul_f32_e32 v88, 0xbf06c442, v88
	v_mul_f32_e32 v70, 0x3f65296c, v70
	v_add_f32_e32 v58, v211, v58
	v_fmamk_f32 v222, v60, 0xbf7ba420, v221
	s_delay_alu instid0(VALU_DEP_1) | instskip(SKIP_2) | instid1(VALU_DEP_2)
	v_add_f32_e32 v96, v222, v96
	v_mul_f32_e32 v222, 0x3f2c7751, v72
	v_mul_f32_e32 v72, 0xbf763a35, v72
	v_fma_f32 v223, 0x3f3d2fb0, v61, -v222
	s_delay_alu instid0(VALU_DEP_1) | instskip(SKIP_3) | instid1(VALU_DEP_3)
	v_add_f32_e32 v97, v223, v97
	v_mul_f32_e32 v223, 0x3f2c7751, v71
	v_mul_f32_e32 v71, 0xbf763a35, v71
	v_fmac_f32_e32 v102, 0x3f3d2fb0, v8
	v_fmamk_f32 v224, v62, 0x3f3d2fb0, v223
	s_delay_alu instid0(VALU_DEP_1) | instskip(SKIP_1) | instid1(VALU_DEP_1)
	v_add_f32_e32 v224, v224, v96
	v_fma_f32 v96, 0xbe8c1d8e, v54, -v225
	v_dual_fmac_f32 v225, 0xbe8c1d8e, v54 :: v_dual_add_f32 v96, v96, v97
	v_fmamk_f32 v97, v2, 0xbe8c1d8e, v226
	s_delay_alu instid0(VALU_DEP_1)
	v_add_f32_e32 v97, v97, v224
	ds_store_2addr_b64 v215, v[0:1], v[4:5] offset0:4 offset1:5
	ds_store_2addr_b64 v215, v[98:99], v[96:97] offset0:6 offset1:7
	v_dual_mul_f32 v4, 0x3eb8f4ab, v91 :: v_dual_mul_f32 v5, 0x3eb8f4ab, v90
	v_fma_f32 v90, 0xbf59a7d5, v8, -v89
	v_fmac_f32_e32 v89, 0xbf59a7d5, v8
	v_mul_f32_e32 v91, 0x3f7ee86f, v101
	s_delay_alu instid0(VALU_DEP_4) | instskip(SKIP_2) | instid1(VALU_DEP_2)
	v_fma_f32 v0, 0x3f6eb680, v50, -v4
	v_dual_fmamk_f32 v1, v51, 0x3f6eb680, v5 :: v_dual_fmac_f32 v4, 0x3f6eb680, v50
	v_fma_f32 v5, 0x3f6eb680, v51, -v5
	v_dual_add_f32 v0, v0, v95 :: v_dual_add_f32 v1, v1, v94
	s_delay_alu instid0(VALU_DEP_2) | instskip(SKIP_1) | instid1(VALU_DEP_3)
	v_dual_add_f32 v4, v4, v93 :: v_dual_add_f32 v5, v5, v92
	v_fmac_f32_e32 v160, 0x3f6eb680, v8
	v_add_f32_e32 v0, v90, v0
	v_fmamk_f32 v90, v9, 0xbf59a7d5, v88
	v_fma_f32 v88, 0xbf59a7d5, v9, -v88
	v_dual_add_f32 v4, v89, v4 :: v_dual_mul_f32 v89, 0x3f2c7751, v130
	s_delay_alu instid0(VALU_DEP_3) | instskip(SKIP_1) | instid1(VALU_DEP_4)
	v_dual_fmac_f32 v156, 0xbf1a4643, v54 :: v_dual_add_f32 v1, v90, v1
	v_fma_f32 v90, 0x3f3d2fb0, v57, -v74
	v_add_f32_e32 v5, v88, v5
	v_fmac_f32_e32 v74, 0x3f3d2fb0, v57
	v_fmac_f32_e32 v158, 0xbe8c1d8e, v50
	s_delay_alu instid0(VALU_DEP_4) | instskip(SKIP_3) | instid1(VALU_DEP_3)
	v_add_f32_e32 v0, v90, v0
	v_fmamk_f32 v90, v56, 0x3f3d2fb0, v63
	v_fma_f32 v63, 0x3f3d2fb0, v56, -v63
	v_add_f32_e32 v4, v74, v4
	v_add_f32_e32 v1, v90, v1
	v_fma_f32 v90, 0xbf1a4643, v48, -v73
	s_delay_alu instid0(VALU_DEP_4) | instskip(SKIP_2) | instid1(VALU_DEP_4)
	v_add_f32_e32 v5, v63, v5
	v_fma_f32 v63, 0xbe8c1d8e, v51, -v159
	v_fmac_f32_e32 v73, 0xbf1a4643, v48
	v_dual_mul_f32 v159, 0xbe3c28d5, v126 :: v_dual_add_f32 v0, v90, v0
	v_fmamk_f32 v90, v49, 0xbf1a4643, v59
	v_fma_f32 v59, 0xbf1a4643, v49, -v59
	v_dual_add_f32 v63, v63, v86 :: v_dual_fmac_f32 v166, 0x3f3d2fb0, v68
	s_delay_alu instid0(VALU_DEP_3) | instskip(NEXT) | instid1(VALU_DEP_3)
	v_dual_add_f32 v4, v73, v4 :: v_dual_add_f32 v1, v90, v1
	v_add_f32_e32 v5, v59, v5
	v_fma_f32 v59, 0x3ee437d1, v60, -v70
	v_fma_f32 v90, 0x3ee437d1, v68, -v69
	v_fmac_f32_e32 v69, 0x3ee437d1, v68
	s_delay_alu instid0(VALU_DEP_3) | instskip(SKIP_1) | instid1(VALU_DEP_4)
	v_add_f32_e32 v5, v59, v5
	v_fma_f32 v59, 0xbe8c1d8e, v62, -v71
	v_add_f32_e32 v0, v90, v0
	v_fmamk_f32 v90, v60, 0x3ee437d1, v70
	v_add_f32_e32 v4, v69, v4
	v_fma_f32 v69, 0x3f6eb680, v9, -v161
	v_add_f32_e32 v5, v59, v5
	v_fma_f32 v59, 0x3dbcf732, v2, -v91
	;; [unrolled: 2-line block ×4, first 2 shown]
	v_add_f32_e32 v5, v59, v5
	v_add_f32_e32 v59, v158, v87
	;; [unrolled: 1-line block ×3, first 2 shown]
	v_fmamk_f32 v90, v62, 0xbe8c1d8e, v71
	v_dual_fmac_f32 v164, 0x3dbcf732, v48 :: v_dual_add_f32 v63, v69, v63
	s_delay_alu instid0(VALU_DEP_4) | instskip(SKIP_1) | instid1(VALU_DEP_4)
	v_add_f32_e32 v59, v160, v59
	v_fma_f32 v69, 0x3dbcf732, v49, -v165
	v_dual_add_f32 v1, v90, v1 :: v_dual_mul_f32 v90, 0x3f7ee86f, v100
	s_delay_alu instid0(VALU_DEP_3) | instskip(NEXT) | instid1(VALU_DEP_3)
	v_dual_fmac_f32 v216, 0xbf1a4643, v57 :: v_dual_add_f32 v59, v162, v59
	v_add_f32_e32 v63, v69, v63
	v_fma_f32 v69, 0x3f3d2fb0, v60, -v167
	s_delay_alu instid0(VALU_DEP_4) | instskip(NEXT) | instid1(VALU_DEP_4)
	v_fma_f32 v94, 0x3dbcf732, v54, -v90
	v_dual_fmac_f32 v90, 0x3dbcf732, v54 :: v_dual_add_f32 v59, v164, v59
	s_delay_alu instid0(VALU_DEP_3) | instskip(NEXT) | instid1(VALU_DEP_3)
	v_dual_add_f32 v58, v216, v58 :: v_dual_add_f32 v63, v69, v63
	v_add_f32_e32 v0, v94, v0
	v_fmamk_f32 v94, v2, 0x3dbcf732, v91
	s_delay_alu instid0(VALU_DEP_4) | instskip(SKIP_2) | instid1(VALU_DEP_4)
	v_add_f32_e32 v59, v166, v59
	v_fma_f32 v69, 0xbf7ba420, v62, -v169
	v_fmac_f32_e32 v218, 0x3f6eb680, v48
	v_dual_fmac_f32 v220, 0xbf7ba420, v68 :: v_dual_add_f32 v1, v94, v1
	s_delay_alu instid0(VALU_DEP_4) | instskip(NEXT) | instid1(VALU_DEP_3)
	v_add_f32_e32 v59, v168, v59
	v_dual_add_f32 v63, v69, v63 :: v_dual_add_f32 v58, v218, v58
	v_fmac_f32_e32 v222, 0x3f3d2fb0, v61
	v_fma_f32 v70, 0x3ee437d1, v2, -v172
	s_delay_alu instid0(VALU_DEP_4) | instskip(SKIP_4) | instid1(VALU_DEP_4)
	v_add_f32_e32 v69, v171, v59
	v_fma_f32 v59, 0x3ee437d1, v51, -v210
	v_add_f32_e32 v58, v220, v58
	v_mul_f32_e32 v71, 0xbe3c28d5, v130
	v_mul_f32_e32 v87, 0x3f763a35, v132
	v_dual_mul_f32 v172, 0x3f2c7751, v126 :: v_dual_add_f32 v55, v59, v55
	v_fma_f32 v59, 0x3dbcf732, v9, -v214
	s_delay_alu instid0(VALU_DEP_1) | instskip(SKIP_1) | instid1(VALU_DEP_1)
	v_dual_add_f32 v58, v222, v58 :: v_dual_add_f32 v55, v59, v55
	v_fma_f32 v59, 0xbf1a4643, v56, -v217
	v_dual_add_f32 v58, v225, v58 :: v_dual_add_f32 v55, v59, v55
	v_fma_f32 v59, 0x3f6eb680, v49, -v219
	s_delay_alu instid0(VALU_DEP_1) | instskip(SKIP_1) | instid1(VALU_DEP_1)
	v_add_f32_e32 v55, v59, v55
	v_fma_f32 v59, 0xbf7ba420, v60, -v221
	v_add_f32_e32 v55, v59, v55
	v_fma_f32 v59, 0x3f3d2fb0, v62, -v223
	s_delay_alu instid0(VALU_DEP_1) | instskip(SKIP_1) | instid1(VALU_DEP_1)
	v_add_f32_e32 v55, v59, v55
	v_fma_f32 v59, 0xbe8c1d8e, v2, -v226
	v_dual_add_f32 v59, v59, v55 :: v_dual_fmac_f32 v72, 0xbe8c1d8e, v61
	v_add_f32_e32 v55, v30, v28
	v_dual_add_f32 v70, v70, v63 :: v_dual_add_f32 v45, v120, v45
	s_delay_alu instid0(VALU_DEP_3) | instskip(NEXT) | instid1(VALU_DEP_1)
	v_add_f32_e32 v4, v72, v4
	v_add_f32_e32 v4, v90, v4
	ds_store_2addr_b64 v215, v[0:1], v[4:5] offset0:8 offset1:9
	ds_store_2addr_b64 v215, v[58:59], v[69:70] offset0:10 offset1:11
	v_fma_f32 v5, 0xbf59a7d5, v51, -v103
	v_fma_f32 v1, 0xbf7ba420, v51, -v105
	;; [unrolled: 1-line block ×3, first 2 shown]
	v_dual_add_f32 v0, v106, v53 :: v_dual_add_f32 v53, v24, v42
	s_delay_alu instid0(VALU_DEP_4) | instskip(SKIP_2) | instid1(VALU_DEP_4)
	v_add_f32_e32 v5, v5, v46
	v_fma_f32 v46, 0x3f3d2fb0, v9, -v147
	v_add_f32_e32 v1, v1, v52
	v_dual_mul_f32 v69, 0xbf06c442, v126 :: v_dual_add_f32 v0, v104, v0
	v_mul_f32_e32 v103, 0xbf06c442, v130
	s_delay_alu instid0(VALU_DEP_4) | instskip(SKIP_4) | instid1(VALU_DEP_4)
	v_add_f32_e32 v5, v46, v5
	v_fma_f32 v46, 0x3ee437d1, v56, -v149
	v_add_f32_e32 v1, v4, v1
	v_fma_f32 v4, 0x3f6eb680, v56, -v109
	v_fmac_f32_e32 v80, 0xbf59a7d5, v61
	v_dual_fmac_f32 v136, 0x3ee437d1, v48 :: v_dual_add_f32 v5, v46, v5
	v_fma_f32 v46, 0xbf7ba420, v49, -v151
	s_delay_alu instid0(VALU_DEP_4) | instskip(SKIP_2) | instid1(VALU_DEP_4)
	v_add_f32_e32 v1, v4, v1
	v_fma_f32 v4, 0x3ee437d1, v49, -v139
	v_add_f32_e32 v48, v17, v39
	v_dual_add_f32 v52, v21, v35 :: v_dual_add_f32 v5, v46, v5
	v_fma_f32 v46, 0x3dbcf732, v60, -v153
	s_delay_alu instid0(VALU_DEP_4) | instskip(SKIP_1) | instid1(VALU_DEP_3)
	v_add_f32_e32 v1, v4, v1
	v_fma_f32 v4, 0xbf59a7d5, v60, -v141
	v_dual_mul_f32 v90, 0x3f4c4adb, v126 :: v_dual_add_f32 v5, v46, v5
	v_fma_f32 v46, 0x3f6eb680, v62, -v155
	s_delay_alu instid0(VALU_DEP_3) | instskip(SKIP_1) | instid1(VALU_DEP_3)
	v_add_f32_e32 v1, v4, v1
	v_fma_f32 v4, 0xbf1a4643, v62, -v143
	v_add_f32_e32 v5, v46, v5
	v_fma_f32 v46, 0xbf1a4643, v2, -v157
	s_delay_alu instid0(VALU_DEP_3) | instskip(SKIP_1) | instid1(VALU_DEP_3)
	v_add_f32_e32 v1, v4, v1
	v_fma_f32 v4, 0x3f3d2fb0, v2, -v145
	v_add_f32_e32 v5, v46, v5
	v_fma_f32 v46, 0x3dbcf732, v51, -v111
	s_delay_alu instid0(VALU_DEP_3) | instskip(SKIP_1) | instid1(VALU_DEP_3)
	v_dual_add_f32 v1, v4, v1 :: v_dual_add_f32 v4, v146, v47
	v_fma_f32 v47, 0x3f6eb680, v2, -v124
	v_add_f32_e32 v44, v46, v44
	v_fma_f32 v46, 0xbf1a4643, v9, -v113
	s_delay_alu instid0(VALU_DEP_4) | instskip(NEXT) | instid1(VALU_DEP_2)
	v_add_f32_e32 v4, v102, v4
	v_add_f32_e32 v44, v46, v44
	v_fma_f32 v46, 0xbf7ba420, v56, -v115
	s_delay_alu instid0(VALU_DEP_1) | instskip(SKIP_1) | instid1(VALU_DEP_1)
	v_add_f32_e32 v44, v46, v44
	v_fma_f32 v46, 0xbf59a7d5, v49, -v117
	v_dual_sub_f32 v117, v37, v19 :: v_dual_add_f32 v44, v46, v44
	v_fma_f32 v46, 0xbe8c1d8e, v60, -v119
	s_delay_alu instid0(VALU_DEP_2) | instskip(SKIP_1) | instid1(VALU_DEP_3)
	v_dual_mul_f32 v72, 0xbf7ee86f, v117 :: v_dual_sub_f32 v119, v33, v23
	v_mul_f32_e32 v109, 0xbf4c4adb, v117
	v_dual_mul_f32 v143, 0x3f06c442, v117 :: v_dual_add_f32 v44, v46, v44
	v_fma_f32 v46, 0x3ee437d1, v62, -v121
	s_delay_alu instid0(VALU_DEP_4) | instskip(SKIP_2) | instid1(VALU_DEP_4)
	v_mul_f32_e32 v61, 0xbf7ee86f, v119
	v_sub_f32_e32 v121, v35, v21
	v_mul_f32_e32 v107, 0x3f763a35, v119
	v_dual_mul_f32 v141, 0xbf65296c, v119 :: v_dual_add_f32 v46, v46, v44
	v_add_f32_e32 v44, v123, v45
	s_delay_alu instid0(VALU_DEP_4)
	v_mul_f32_e32 v63, 0xbf763a35, v121
	v_sub_f32_e32 v123, v38, v16
	v_mul_f32_e32 v97, 0xbf65296c, v121
	v_add_f32_e32 v45, v47, v46
	v_fma_f32 v47, 0xbf59a7d5, v2, -v138
	v_fma_f32 v2, 0xbf7ba420, v2, -v85
	v_fmac_f32_e32 v108, 0x3f6eb680, v57
	v_fma_f32 v46, 0xbf1a4643, v51, -v125
	v_sub_f32_e32 v125, v41, v27
	v_add_f32_e32 v57, v31, v29
	v_dual_mul_f32 v58, 0xbf2c7751, v117 :: v_dual_mul_f32 v167, 0xbf2c7751, v132
	v_add_f32_e32 v0, v108, v0
	v_add_f32_e32 v10, v46, v10
	v_fma_f32 v46, 0xbf7ba420, v9, -v127
	v_sub_f32_e32 v127, v32, v22
	s_delay_alu instid0(VALU_DEP_4) | instskip(SKIP_1) | instid1(VALU_DEP_4)
	v_dual_mul_f32 v105, 0xbeb8f4ab, v125 :: v_dual_add_f32 v0, v136, v0
	v_sub_f32_e32 v120, v36, v18
	v_add_f32_e32 v10, v46, v10
	v_fma_f32 v46, 0xbe8c1d8e, v56, -v129
	s_delay_alu instid0(VALU_DEP_4) | instskip(SKIP_1) | instid1(VALU_DEP_3)
	v_dual_mul_f32 v85, 0xbe3c28d5, v127 :: v_dual_add_f32 v0, v140, v0
	v_sub_f32_e32 v129, v34, v20
	v_dual_mul_f32 v115, 0x3f763a35, v127 :: v_dual_add_f32 v10, v46, v10
	v_fma_f32 v46, 0x3f3d2fb0, v49, -v131
	v_dual_sub_f32 v131, v42, v24 :: v_dual_sub_f32 v118, v39, v17
	v_mul_f32_e32 v106, 0x3f2c7751, v121
	s_delay_alu instid0(VALU_DEP_3) | instskip(SKIP_1) | instid1(VALU_DEP_4)
	v_dual_mul_f32 v113, 0xbf4c4adb, v120 :: v_dual_add_f32 v10, v46, v10
	v_fma_f32 v46, 0x3f6eb680, v60, -v133
	v_mul_f32_e32 v111, 0xbf7ee86f, v131
	v_mul_f32_e32 v108, 0x3e3c28d5, v118
	v_dual_sub_f32 v122, v15, v65 :: v_dual_mul_f32 v223, 0x3f2c7751, v131
	s_delay_alu instid0(VALU_DEP_4) | instskip(SKIP_2) | instid1(VALU_DEP_4)
	v_add_f32_e32 v10, v46, v10
	v_fma_f32 v46, 0x3dbcf732, v62, -v135
	v_add_f32_e32 v124, v64, v14
	v_dual_mul_f32 v128, 0xbeb8f4ab, v122 :: v_dual_sub_f32 v135, v14, v64
	v_add_f32_e32 v0, v142, v0
	s_delay_alu instid0(VALU_DEP_4) | instskip(SKIP_2) | instid1(VALU_DEP_3)
	v_add_f32_e32 v46, v46, v10
	v_dual_add_f32 v10, v137, v11 :: v_dual_mul_f32 v59, 0xbf65296c, v118
	v_sub_f32_e32 v133, v28, v30
	v_dual_add_f32 v0, v144, v0 :: v_dual_add_f32 v11, v47, v46
	v_add_f32_e32 v47, v22, v32
	v_dual_add_f32 v4, v148, v4 :: v_dual_mul_f32 v153, 0xbf65296c, v122
	s_delay_alu instid0(VALU_DEP_4) | instskip(SKIP_2) | instid1(VALU_DEP_4)
	v_mul_f32_e32 v162, 0x3f65296c, v133
	v_mul_f32_e32 v136, 0xbeb8f4ab, v135
	v_add_f32_e32 v46, v19, v37
	v_dual_add_f32 v4, v150, v4 :: v_dual_mul_f32 v161, 0xbf65296c, v135
	v_dual_mul_f32 v94, 0xbe3c28d5, v117 :: v_dual_mul_f32 v225, 0xbe3c28d5, v132
	v_mul_f32_e32 v98, 0xbe3c28d5, v120
	s_delay_alu instid0(VALU_DEP_3) | instskip(SKIP_3) | instid1(VALU_DEP_4)
	v_add_f32_e32 v4, v152, v4
	v_mul_f32_e32 v68, 0xbf763a35, v129
	v_dual_add_f32 v54, v27, v41 :: v_dual_mul_f32 v93, 0x3f4c4adb, v131
	v_mul_f32_e32 v70, 0xbf4c4adb, v132
	v_dual_add_f32 v4, v154, v4 :: v_dual_mul_f32 v95, 0x3f763a35, v118
	v_mul_f32_e32 v73, 0xbf06c442, v131
	v_mul_f32_e32 v99, 0x3f763a35, v123
	s_delay_alu instid0(VALU_DEP_3)
	v_dual_mul_f32 v91, 0x3f2c7751, v133 :: v_dual_add_f32 v4, v156, v4
	ds_store_2addr_b64 v215, v[4:5], v[0:1] offset0:12 offset1:13
	ds_store_2addr_b64 v215, v[10:11], v[44:45] offset0:14 offset1:15
	v_fma_f32 v0, 0x3f3d2fb0, v51, -v77
	v_add_f32_e32 v1, v66, v7
	v_fma_f32 v4, 0x3ee437d1, v9, -v79
	v_add_f32_e32 v44, v18, v36
	v_fma_f32 v11, 0x3ee437d1, v57, -v162
	s_delay_alu instid0(VALU_DEP_4) | instskip(SKIP_2) | instid1(VALU_DEP_3)
	v_dual_add_f32 v0, v0, v6 :: v_dual_add_f32 v1, v67, v1
	v_dual_mul_f32 v104, 0xbf7ee86f, v126 :: v_dual_add_f32 v51, v26, v40
	v_add_f32_e32 v45, v16, v38
	v_add_f32_e32 v0, v4, v0
	v_fma_f32 v4, 0x3dbcf732, v56, -v81
	v_add_f32_e32 v1, v75, v1
	v_mul_f32_e32 v81, 0x3eb8f4ab, v133
	v_dual_add_f32 v50, v23, v33 :: v_dual_fmamk_f32 v5, v44, 0xbf7ba420, v94
	s_delay_alu instid0(VALU_DEP_4) | instskip(SKIP_4) | instid1(VALU_DEP_4)
	v_add_f32_e32 v0, v4, v0
	v_fma_f32 v4, 0xbe8c1d8e, v49, -v82
	v_dual_add_f32 v1, v76, v1 :: v_dual_mul_f32 v66, 0xbf7ee86f, v127
	v_add_f32_e32 v49, v20, v34
	v_fma_f32 v6, 0xbf7ba420, v46, -v98
	v_add_f32_e32 v0, v4, v0
	v_fma_f32 v4, 0xbf1a4643, v60, -v83
	v_dual_add_f32 v1, v78, v1 :: v_dual_mul_f32 v60, 0xbf2c7751, v120
	v_dual_mul_f32 v67, 0xbf4c4adb, v125 :: v_dual_add_f32 v56, v25, v43
	s_delay_alu instid0(VALU_DEP_3) | instskip(SKIP_1) | instid1(VALU_DEP_4)
	v_add_f32_e32 v0, v4, v0
	v_fma_f32 v4, 0xbf59a7d5, v62, -v84
	v_dual_add_f32 v1, v80, v1 :: v_dual_mul_f32 v62, 0xbf65296c, v123
	v_mul_f32_e32 v79, 0xbe3c28d5, v133
	v_mul_f32_e32 v140, 0xbe3c28d5, v121
	s_delay_alu instid0(VALU_DEP_4) | instskip(NEXT) | instid1(VALU_DEP_4)
	v_add_f32_e32 v0, v4, v0
	v_dual_add_f32 v234, v3, v1 :: v_dual_fmamk_f32 v1, v124, 0x3f6eb680, v128
	v_fma_f32 v4, 0xbf1a4643, v46, -v113
	s_delay_alu instid0(VALU_DEP_3) | instskip(SKIP_1) | instid1(VALU_DEP_4)
	v_dual_mul_f32 v146, 0xbf2c7751, v122 :: v_dual_add_f32 v235, v2, v0
	v_fma_f32 v2, 0x3f3d2fb0, v46, -v60
	v_dual_add_f32 v0, v1, v12 :: v_dual_fmamk_f32 v1, v44, 0x3f3d2fb0, v58
	v_mul_f32_e32 v101, 0xbf65296c, v129
	v_fma_f32 v7, 0x3f3d2fb0, v57, -v91
	v_dual_mul_f32 v76, 0x3f06c442, v121 :: v_dual_mul_f32 v151, 0x3f06c442, v120
	s_delay_alu instid0(VALU_DEP_4) | instskip(SKIP_2) | instid1(VALU_DEP_4)
	v_add_f32_e32 v0, v1, v0
	v_fma_f32 v1, 0x3f6eb680, v134, -v136
	v_dual_mul_f32 v219, 0xbf7ee86f, v118 :: v_dual_mul_f32 v82, 0xbf7ee86f, v120
	v_fma_f32 v8, 0xbf59a7d5, v46, -v151
	s_delay_alu instid0(VALU_DEP_3) | instskip(SKIP_3) | instid1(VALU_DEP_4)
	v_dual_mul_f32 v150, 0xbf2c7751, v135 :: v_dual_add_f32 v1, v1, v13
	v_dual_mul_f32 v74, 0xbf4c4adb, v118 :: v_dual_mul_f32 v83, 0xbf4c4adb, v123
	v_mul_f32_e32 v137, 0xbf4c4adb, v130
	v_mul_f32_e32 v75, 0xbe3c28d5, v119
	v_dual_add_f32 v1, v2, v1 :: v_dual_fmamk_f32 v2, v45, 0x3ee437d1, v59
	v_mul_f32_e32 v142, 0x3f2c7751, v118
	v_mul_f32_e32 v86, 0x3f06c442, v129
	;; [unrolled: 1-line block ×4, first 2 shown]
	v_add_f32_e32 v0, v2, v0
	v_fma_f32 v2, 0x3ee437d1, v48, -v62
	v_dual_mul_f32 v154, 0x3f763a35, v117 :: v_dual_mul_f32 v163, 0x3f763a35, v120
	v_mul_f32_e32 v88, 0x3f65296c, v131
	s_delay_alu instid0(VALU_DEP_3) | instskip(SKIP_1) | instid1(VALU_DEP_4)
	v_dual_mul_f32 v80, 0x3eb8f4ab, v130 :: v_dual_add_f32 v1, v2, v1
	v_fmamk_f32 v2, v47, 0x3dbcf732, v61
	v_fma_f32 v10, 0xbe8c1d8e, v46, -v163
	v_mul_f32_e32 v139, 0x3f7ee86f, v125
	v_mul_f32_e32 v138, 0xbeb8f4ab, v126
	v_fma_f32 v3, 0x3f6eb680, v57, -v81
	v_add_f32_e32 v0, v2, v0
	v_fma_f32 v2, 0x3dbcf732, v50, -v66
	v_mul_f32_e32 v145, 0xbeb8f4ab, v131
	v_fmamk_f32 v9, v44, 0xbe8c1d8e, v154
	v_mul_f32_e32 v231, 0xbf4c4adb, v135
	v_mul_f32_e32 v155, 0xbeb8f4ab, v118
	v_dual_add_f32 v1, v2, v1 :: v_dual_fmamk_f32 v2, v49, 0xbe8c1d8e, v63
	v_mul_f32_e32 v157, 0x3f7ee86f, v121
	v_mul_f32_e32 v165, 0xbe3c28d5, v131
	;; [unrolled: 1-line block ×4, first 2 shown]
	v_add_f32_e32 v0, v2, v0
	v_fma_f32 v2, 0xbe8c1d8e, v52, -v68
	v_mul_f32_e32 v116, 0x3f2c7751, v129
	v_dual_mul_f32 v112, 0xbeb8f4ab, v132 :: v_dual_mul_f32 v217, 0xbeb8f4ab, v121
	v_dual_mul_f32 v110, 0xbf06c442, v133 :: v_dual_mul_f32 v233, 0xbf06c442, v135
	s_delay_alu instid0(VALU_DEP_4)
	v_dual_add_f32 v1, v2, v1 :: v_dual_fmamk_f32 v2, v51, 0xbf1a4643, v67
	v_mul_f32_e32 v226, 0x3f65296c, v120
	v_mul_f32_e32 v218, 0x3f4c4adb, v119
	;; [unrolled: 1-line block ×4, first 2 shown]
	v_add_f32_e32 v0, v2, v0
	v_fma_f32 v2, 0xbf1a4643, v54, -v70
	v_fma_f32 v84, 0x3ee437d1, v46, -v226
	v_mul_f32_e32 v170, 0xbf7ee86f, v135
	v_mul_f32_e32 v216, 0xbe3c28d5, v125
	;; [unrolled: 1-line block ×3, first 2 shown]
	v_dual_add_f32 v1, v2, v1 :: v_dual_fmamk_f32 v2, v53, 0xbf59a7d5, v69
	v_mul_f32_e32 v102, 0xbf06c442, v132
	v_mul_f32_e32 v224, 0xbf763a35, v135
	;; [unrolled: 1-line block ×3, first 2 shown]
	s_delay_alu instid0(VALU_DEP_4) | instskip(SKIP_4) | instid1(VALU_DEP_4)
	v_dual_mul_f32 v149, 0xbf65296c, v127 :: v_dual_add_f32 v0, v2, v0
	v_fma_f32 v2, 0xbf59a7d5, v56, -v73
	v_mul_f32_e32 v148, 0xbe3c28d5, v129
	v_dual_mul_f32 v147, 0x3f7ee86f, v132 :: v_dual_mul_f32 v168, 0x3f7ee86f, v129
	v_mul_f32_e32 v144, 0xbf4c4adb, v133
	v_dual_add_f32 v1, v2, v1 :: v_dual_fmamk_f32 v2, v55, 0xbf7ba420, v71
	v_mul_f32_e32 v164, 0xbeb8f4ab, v123
	v_mul_f32_e32 v156, 0xbf06c442, v119
	;; [unrolled: 1-line block ×4, first 2 shown]
	v_add_f32_e32 v210, v2, v0
	v_fma_f32 v0, 0xbf7ba420, v57, -v79
	v_fma_f32 v2, 0x3dbcf732, v46, -v82
	v_mul_f32_e32 v160, 0x3f65296c, v130
	v_mul_f32_e32 v228, 0x3f4c4adb, v127
	;; [unrolled: 1-line block ×3, first 2 shown]
	v_add_f32_e32 v211, v0, v1
	v_fmamk_f32 v0, v124, 0x3f3d2fb0, v146
	v_fmamk_f32 v1, v44, 0x3dbcf732, v72
	v_mul_f32_e32 v171, 0xbf763a35, v130
	v_mul_f32_e32 v227, 0xbf7ee86f, v123
	s_delay_alu instid0(VALU_DEP_4) | instskip(NEXT) | instid1(VALU_DEP_1)
	v_dual_mul_f32 v229, 0xbeb8f4ab, v129 :: v_dual_add_f32 v0, v0, v12
	v_add_f32_e32 v0, v1, v0
	v_fma_f32 v1, 0x3f3d2fb0, v134, -v150
	s_delay_alu instid0(VALU_DEP_1) | instskip(NEXT) | instid1(VALU_DEP_1)
	v_add_f32_e32 v1, v1, v13
	v_dual_add_f32 v1, v2, v1 :: v_dual_fmamk_f32 v2, v45, 0xbf1a4643, v74
	s_delay_alu instid0(VALU_DEP_1) | instskip(SKIP_1) | instid1(VALU_DEP_1)
	v_add_f32_e32 v0, v2, v0
	v_fma_f32 v2, 0xbf1a4643, v48, -v83
	v_dual_add_f32 v1, v2, v1 :: v_dual_fmamk_f32 v2, v47, 0xbf7ba420, v75
	s_delay_alu instid0(VALU_DEP_1) | instskip(SKIP_1) | instid1(VALU_DEP_1)
	v_add_f32_e32 v0, v2, v0
	v_fma_f32 v2, 0xbf7ba420, v50, -v85
	;; [unrolled: 4-line block ×5, first 2 shown]
	v_dual_add_f32 v1, v2, v1 :: v_dual_fmamk_f32 v2, v55, 0x3f6eb680, v80
	s_delay_alu instid0(VALU_DEP_1) | instskip(SKIP_2) | instid1(VALU_DEP_2)
	v_dual_add_f32 v3, v3, v1 :: v_dual_add_f32 v2, v2, v0
	v_fmamk_f32 v0, v124, 0x3ee437d1, v153
	v_fmamk_f32 v1, v44, 0xbf1a4643, v109
	v_add_f32_e32 v0, v0, v12
	s_delay_alu instid0(VALU_DEP_1)
	v_add_f32_e32 v0, v1, v0
	v_fmamk_f32 v1, v45, 0xbf7ba420, v108
	v_mul_f32_e32 v169, 0xbf7ee86f, v122
	v_mul_f32_e32 v221, 0xbf763a35, v122
	v_mul_f32_e32 v230, 0xbf4c4adb, v122
	v_mul_f32_e32 v232, 0xbf06c442, v122
	v_dual_add_f32 v0, v1, v0 :: v_dual_fmamk_f32 v1, v47, 0xbe8c1d8e, v107
	s_delay_alu instid0(VALU_DEP_1) | instskip(SKIP_1) | instid1(VALU_DEP_1)
	v_add_f32_e32 v0, v1, v0
	v_fmamk_f32 v1, v49, 0x3f3d2fb0, v106
	v_dual_add_f32 v0, v1, v0 :: v_dual_fmamk_f32 v1, v51, 0x3f6eb680, v105
	s_delay_alu instid0(VALU_DEP_1) | instskip(SKIP_3) | instid1(VALU_DEP_1)
	v_add_f32_e32 v0, v1, v0
	v_fmamk_f32 v1, v53, 0x3dbcf732, v104
	ds_store_b64 v215, v[234:235] offset:128
	v_dual_add_f32 v0, v1, v0 :: v_dual_fmamk_f32 v1, v55, 0xbf59a7d5, v103
	v_add_f32_e32 v0, v1, v0
	v_fma_f32 v1, 0x3ee437d1, v134, -v161
	s_delay_alu instid0(VALU_DEP_1) | instskip(NEXT) | instid1(VALU_DEP_1)
	v_add_f32_e32 v1, v1, v13
	v_add_f32_e32 v1, v4, v1
	v_fma_f32 v4, 0xbf7ba420, v48, -v114
	s_delay_alu instid0(VALU_DEP_1) | instskip(SKIP_1) | instid1(VALU_DEP_1)
	v_add_f32_e32 v1, v4, v1
	v_fma_f32 v4, 0xbe8c1d8e, v50, -v115
	v_add_f32_e32 v1, v4, v1
	v_fma_f32 v4, 0x3f3d2fb0, v52, -v116
	s_delay_alu instid0(VALU_DEP_1) | instskip(SKIP_1) | instid1(VALU_DEP_1)
	v_add_f32_e32 v1, v4, v1
	v_fma_f32 v4, 0x3f6eb680, v54, -v112
	;; [unrolled: 5-line block ×3, first 2 shown]
	v_add_f32_e32 v1, v4, v1
	v_fmamk_f32 v4, v124, 0x3dbcf732, v169
	s_delay_alu instid0(VALU_DEP_1) | instskip(NEXT) | instid1(VALU_DEP_1)
	v_add_f32_e32 v4, v4, v12
	v_add_f32_e32 v4, v5, v4
	v_fma_f32 v5, 0x3dbcf732, v134, -v170
	s_delay_alu instid0(VALU_DEP_1) | instskip(NEXT) | instid1(VALU_DEP_1)
	v_add_f32_e32 v5, v5, v13
	v_dual_add_f32 v5, v6, v5 :: v_dual_fmamk_f32 v6, v45, 0xbe8c1d8e, v95
	s_delay_alu instid0(VALU_DEP_1) | instskip(SKIP_1) | instid1(VALU_DEP_1)
	v_add_f32_e32 v4, v6, v4
	v_fma_f32 v6, 0xbe8c1d8e, v48, -v99
	v_dual_add_f32 v5, v6, v5 :: v_dual_fmamk_f32 v6, v47, 0x3f6eb680, v96
	s_delay_alu instid0(VALU_DEP_1) | instskip(SKIP_1) | instid1(VALU_DEP_1)
	v_add_f32_e32 v4, v6, v4
	v_fma_f32 v6, 0x3f6eb680, v50, -v100
	;; [unrolled: 4-line block ×5, first 2 shown]
	v_dual_add_f32 v5, v6, v5 :: v_dual_fmamk_f32 v6, v55, 0x3f3d2fb0, v89
	s_delay_alu instid0(VALU_DEP_1) | instskip(SKIP_2) | instid1(VALU_DEP_2)
	v_dual_add_f32 v7, v7, v5 :: v_dual_add_f32 v6, v6, v4
	v_fmamk_f32 v4, v124, 0xbe8c1d8e, v221
	v_fmamk_f32 v5, v44, 0xbf59a7d5, v143
	v_add_f32_e32 v4, v4, v12
	s_delay_alu instid0(VALU_DEP_1) | instskip(SKIP_1) | instid1(VALU_DEP_1)
	v_add_f32_e32 v4, v5, v4
	v_fmamk_f32 v5, v45, 0x3f3d2fb0, v142
	v_dual_add_f32 v4, v5, v4 :: v_dual_fmamk_f32 v5, v47, 0x3ee437d1, v141
	s_delay_alu instid0(VALU_DEP_1) | instskip(SKIP_1) | instid1(VALU_DEP_1)
	v_add_f32_e32 v4, v5, v4
	v_fmamk_f32 v5, v49, 0xbf7ba420, v140
	v_dual_add_f32 v4, v5, v4 :: v_dual_fmamk_f32 v5, v51, 0x3dbcf732, v139
	;; [unrolled: 4-line block ×3, first 2 shown]
	s_delay_alu instid0(VALU_DEP_1) | instskip(SKIP_1) | instid1(VALU_DEP_1)
	v_add_f32_e32 v4, v5, v4
	v_fma_f32 v5, 0xbe8c1d8e, v134, -v224
	v_add_f32_e32 v5, v5, v13
	s_delay_alu instid0(VALU_DEP_1) | instskip(SKIP_1) | instid1(VALU_DEP_1)
	v_add_f32_e32 v5, v8, v5
	v_fma_f32 v8, 0x3f3d2fb0, v48, -v152
	v_add_f32_e32 v5, v8, v5
	v_fma_f32 v8, 0x3ee437d1, v50, -v149
	s_delay_alu instid0(VALU_DEP_1) | instskip(SKIP_1) | instid1(VALU_DEP_1)
	v_add_f32_e32 v5, v8, v5
	v_fma_f32 v8, 0xbf7ba420, v52, -v148
	v_add_f32_e32 v5, v8, v5
	v_fma_f32 v8, 0x3dbcf732, v54, -v147
	;; [unrolled: 5-line block ×3, first 2 shown]
	s_delay_alu instid0(VALU_DEP_1) | instskip(SKIP_1) | instid1(VALU_DEP_1)
	v_add_f32_e32 v5, v8, v5
	v_fmamk_f32 v8, v124, 0xbf1a4643, v230
	v_add_f32_e32 v8, v8, v12
	s_delay_alu instid0(VALU_DEP_1) | instskip(SKIP_1) | instid1(VALU_DEP_1)
	v_add_f32_e32 v8, v9, v8
	v_fma_f32 v9, 0xbf1a4643, v134, -v231
	v_add_f32_e32 v9, v9, v13
	s_delay_alu instid0(VALU_DEP_1) | instskip(NEXT) | instid1(VALU_DEP_1)
	v_dual_add_f32 v9, v10, v9 :: v_dual_fmamk_f32 v10, v45, 0x3f6eb680, v155
	v_add_f32_e32 v8, v10, v8
	v_fma_f32 v10, 0x3f6eb680, v48, -v164
	s_delay_alu instid0(VALU_DEP_1) | instskip(NEXT) | instid1(VALU_DEP_1)
	v_dual_add_f32 v9, v10, v9 :: v_dual_fmamk_f32 v10, v47, 0xbf59a7d5, v156
	v_add_f32_e32 v8, v10, v8
	v_fma_f32 v10, 0xbf59a7d5, v50, -v166
	;; [unrolled: 4-line block ×5, first 2 shown]
	s_delay_alu instid0(VALU_DEP_1) | instskip(NEXT) | instid1(VALU_DEP_1)
	v_dual_add_f32 v9, v10, v9 :: v_dual_fmamk_f32 v10, v55, 0x3ee437d1, v160
	v_dual_add_f32 v11, v11, v9 :: v_dual_add_f32 v10, v10, v8
	v_fmamk_f32 v8, v124, 0xbf59a7d5, v232
	v_fmamk_f32 v9, v44, 0x3ee437d1, v220
	s_delay_alu instid0(VALU_DEP_2) | instskip(NEXT) | instid1(VALU_DEP_1)
	v_add_f32_e32 v8, v8, v12
	v_add_f32_e32 v8, v9, v8
	v_fmamk_f32 v9, v45, 0x3dbcf732, v219
	s_delay_alu instid0(VALU_DEP_1) | instskip(NEXT) | instid1(VALU_DEP_1)
	v_dual_add_f32 v8, v9, v8 :: v_dual_fmamk_f32 v9, v47, 0xbf1a4643, v218
	v_add_f32_e32 v8, v9, v8
	v_fmamk_f32 v9, v49, 0x3f6eb680, v217
	s_delay_alu instid0(VALU_DEP_1) | instskip(NEXT) | instid1(VALU_DEP_1)
	v_dual_add_f32 v8, v9, v8 :: v_dual_fmamk_f32 v9, v51, 0xbf7ba420, v216
	;; [unrolled: 4-line block ×3, first 2 shown]
	v_add_f32_e32 v8, v9, v8
	v_fma_f32 v9, 0xbf59a7d5, v134, -v233
	s_delay_alu instid0(VALU_DEP_1) | instskip(NEXT) | instid1(VALU_DEP_1)
	v_add_f32_e32 v9, v9, v13
	v_add_f32_e32 v9, v84, v9
	v_fma_f32 v84, 0x3dbcf732, v48, -v227
	s_delay_alu instid0(VALU_DEP_1) | instskip(SKIP_1) | instid1(VALU_DEP_1)
	v_add_f32_e32 v9, v84, v9
	v_fma_f32 v84, 0xbf1a4643, v50, -v228
	v_add_f32_e32 v9, v84, v9
	v_fma_f32 v84, 0x3f6eb680, v52, -v229
	s_delay_alu instid0(VALU_DEP_1) | instskip(SKIP_1) | instid1(VALU_DEP_1)
	v_add_f32_e32 v9, v84, v9
	v_fma_f32 v84, 0xbf7ba420, v54, -v225
	;; [unrolled: 5-line block ×3, first 2 shown]
	v_add_f32_e32 v9, v84, v9
	v_add_co_u32 v84, s2, v197, 51
	s_wait_alu 0xf1ff
	v_add_co_ci_u32_e64 v214, null, 0, 0, s2
	s_delay_alu instid0(VALU_DEP_2)
	v_mul_u32_u24_e32 v213, 17, v84
	s_and_saveexec_b32 s2, vcc_lo
	s_cbranch_execz .LBB0_7
; %bb.6:
	v_dual_add_f32 v15, v15, v13 :: v_dual_add_f32 v14, v14, v12
	s_delay_alu instid0(VALU_DEP_1) | instskip(SKIP_2) | instid1(VALU_DEP_3)
	v_dual_add_f32 v15, v37, v15 :: v_dual_add_f32 v14, v36, v14
	v_mul_f32_e32 v36, 0x3eb8f4ab, v117
	v_mul_f32_e32 v117, 0x3f7ee86f, v130
	v_dual_add_f32 v15, v39, v15 :: v_dual_add_f32 v14, v38, v14
	s_delay_alu instid0(VALU_DEP_1) | instskip(NEXT) | instid1(VALU_DEP_1)
	v_dual_add_f32 v15, v33, v15 :: v_dual_add_f32 v14, v32, v14
	v_dual_add_f32 v15, v35, v15 :: v_dual_add_f32 v14, v34, v14
	s_delay_alu instid0(VALU_DEP_1) | instskip(NEXT) | instid1(VALU_DEP_1)
	v_dual_add_f32 v15, v41, v15 :: v_dual_add_f32 v14, v40, v14
	v_dual_add_f32 v15, v43, v15 :: v_dual_add_f32 v14, v42, v14
	s_delay_alu instid0(VALU_DEP_1) | instskip(SKIP_1) | instid1(VALU_DEP_2)
	v_dual_add_f32 v15, v29, v15 :: v_dual_add_f32 v14, v28, v14
	v_dual_mul_f32 v28, 0x3f6eb680, v134 :: v_dual_mul_f32 v29, 0x3f6eb680, v124
	v_dual_add_f32 v15, v31, v15 :: v_dual_add_f32 v14, v30, v14
	s_delay_alu instid0(VALU_DEP_2) | instskip(NEXT) | instid1(VALU_DEP_2)
	v_dual_mul_f32 v30, 0xbe3c28d5, v135 :: v_dual_sub_f32 v29, v29, v128
	v_dual_add_f32 v28, v136, v28 :: v_dual_add_f32 v15, v25, v15
	s_delay_alu instid0(VALU_DEP_3) | instskip(SKIP_1) | instid1(VALU_DEP_4)
	v_add_f32_e32 v14, v24, v14
	v_dual_mul_f32 v24, 0x3ee437d1, v134 :: v_dual_mul_f32 v25, 0x3ee437d1, v124
	v_fmamk_f32 v31, v134, 0xbf7ba420, v30
	s_delay_alu instid0(VALU_DEP_3) | instskip(NEXT) | instid1(VALU_DEP_3)
	v_dual_add_f32 v15, v27, v15 :: v_dual_add_f32 v14, v26, v14
	v_dual_mul_f32 v26, 0x3f3d2fb0, v134 :: v_dual_sub_f32 v25, v25, v153
	s_delay_alu instid0(VALU_DEP_3) | instskip(NEXT) | instid1(VALU_DEP_3)
	v_dual_mul_f32 v32, 0xbe3c28d5, v122 :: v_dual_add_f32 v31, v31, v13
	v_dual_add_f32 v15, v21, v15 :: v_dual_add_f32 v14, v20, v14
	v_dual_mul_f32 v20, 0xbe8c1d8e, v134 :: v_dual_mul_f32 v21, 0xbe8c1d8e, v124
	s_delay_alu instid0(VALU_DEP_4) | instskip(NEXT) | instid1(VALU_DEP_3)
	v_dual_add_f32 v26, v150, v26 :: v_dual_mul_f32 v27, 0x3f3d2fb0, v124
	v_dual_add_f32 v15, v23, v15 :: v_dual_add_f32 v14, v22, v14
	v_dual_mul_f32 v22, 0x3dbcf732, v134 :: v_dual_mul_f32 v23, 0x3dbcf732, v124
	s_delay_alu instid0(VALU_DEP_4) | instskip(NEXT) | instid1(VALU_DEP_3)
	v_dual_add_f32 v20, v224, v20 :: v_dual_sub_f32 v21, v21, v221
	v_dual_add_f32 v15, v17, v15 :: v_dual_add_f32 v14, v16, v14
	v_dual_mul_f32 v16, 0xbf59a7d5, v134 :: v_dual_mul_f32 v17, 0xbf59a7d5, v124
	s_delay_alu instid0(VALU_DEP_4) | instskip(NEXT) | instid1(VALU_DEP_3)
	v_dual_add_f32 v22, v170, v22 :: v_dual_sub_f32 v23, v23, v169
	v_dual_add_f32 v15, v19, v15 :: v_dual_add_f32 v14, v18, v14
	s_delay_alu instid0(VALU_DEP_3) | instskip(SKIP_3) | instid1(VALU_DEP_4)
	v_dual_sub_f32 v17, v17, v232 :: v_dual_mul_f32 v18, 0xbf1a4643, v134
	v_mul_f32_e32 v19, 0xbf1a4643, v124
	v_add_f32_e32 v16, v233, v16
	v_dual_add_f32 v24, v161, v24 :: v_dual_sub_f32 v27, v27, v146
	v_add_f32_e32 v18, v231, v18
	v_fma_f32 v30, 0xbf7ba420, v134, -v30
	v_fma_f32 v33, 0xbf7ba420, v124, -v32
	v_dual_sub_f32 v19, v19, v230 :: v_dual_fmac_f32 v32, 0xbf7ba420, v124
	v_dual_add_f32 v16, v16, v13 :: v_dual_add_f32 v21, v21, v12
	s_delay_alu instid0(VALU_DEP_3)
	v_dual_add_f32 v34, v22, v13 :: v_dual_add_f32 v33, v33, v12
	v_dual_add_f32 v35, v23, v12 :: v_dual_add_f32 v22, v24, v13
	;; [unrolled: 1-line block ×5, first 2 shown]
	v_mul_f32_e32 v30, 0x3eb8f4ab, v120
	v_dual_add_f32 v17, v17, v12 :: v_dual_add_f32 v18, v18, v13
	v_dual_add_f32 v19, v19, v12 :: v_dual_add_f32 v20, v20, v13
	v_add_f32_e32 v13, v65, v15
	v_add_f32_e32 v29, v32, v12
	;; [unrolled: 1-line block ×3, first 2 shown]
	v_fmamk_f32 v14, v46, 0x3f6eb680, v30
	v_mul_f32_e32 v32, 0x3f2c7751, v127
	s_delay_alu instid0(VALU_DEP_2) | instskip(SKIP_1) | instid1(VALU_DEP_1)
	v_dual_mul_f32 v65, 0x3f7ee86f, v133 :: v_dual_add_f32 v14, v14, v31
	v_mul_f32_e32 v31, 0xbf06c442, v123
	v_fmamk_f32 v15, v48, 0xbf59a7d5, v31
	s_delay_alu instid0(VALU_DEP_1) | instskip(NEXT) | instid1(VALU_DEP_1)
	v_dual_add_f32 v14, v15, v14 :: v_dual_fmamk_f32 v15, v50, 0x3f3d2fb0, v32
	v_add_f32_e32 v14, v15, v14
	v_fma_f32 v15, 0x3f6eb680, v44, -v36
	s_delay_alu instid0(VALU_DEP_1) | instskip(SKIP_2) | instid1(VALU_DEP_1)
	v_add_f32_e32 v15, v15, v33
	v_mul_f32_e32 v33, 0xbf4c4adb, v129
	v_fma_f32 v30, 0x3f6eb680, v46, -v30
	v_dual_fmamk_f32 v37, v52, 0xbf1a4643, v33 :: v_dual_add_f32 v28, v30, v28
	v_fma_f32 v30, 0xbf59a7d5, v48, -v31
	s_delay_alu instid0(VALU_DEP_2) | instskip(SKIP_2) | instid1(VALU_DEP_4)
	v_dual_mul_f32 v31, 0xbf59a7d5, v51 :: v_dual_add_f32 v14, v37, v14
	v_mul_f32_e32 v37, 0xbf06c442, v118
	v_mul_f32_e32 v118, 0x3ee437d1, v44
	v_add_f32_e32 v28, v30, v28
	s_delay_alu instid0(VALU_DEP_4) | instskip(NEXT) | instid1(VALU_DEP_4)
	v_sub_f32_e32 v31, v31, v92
	v_fma_f32 v38, 0xbf59a7d5, v45, -v37
	s_delay_alu instid0(VALU_DEP_4) | instskip(NEXT) | instid1(VALU_DEP_2)
	v_sub_f32_e32 v118, v118, v220
	v_dual_add_f32 v15, v38, v15 :: v_dual_mul_f32 v38, 0x3f65296c, v132
	s_delay_alu instid0(VALU_DEP_2) | instskip(NEXT) | instid1(VALU_DEP_1)
	v_dual_add_f32 v17, v118, v17 :: v_dual_mul_f32 v118, 0xbf7ba420, v54
	v_dual_fmamk_f32 v39, v54, 0x3ee437d1, v38 :: v_dual_add_f32 v118, v225, v118
	s_delay_alu instid0(VALU_DEP_1) | instskip(NEXT) | instid1(VALU_DEP_1)
	v_dual_add_f32 v14, v39, v14 :: v_dual_mul_f32 v39, 0x3f2c7751, v119
	v_fma_f32 v40, 0x3f3d2fb0, v47, -v39
	s_delay_alu instid0(VALU_DEP_1) | instskip(NEXT) | instid1(VALU_DEP_1)
	v_dual_add_f32 v15, v40, v15 :: v_dual_mul_f32 v40, 0xbf4c4adb, v121
	v_fma_f32 v41, 0xbf1a4643, v49, -v40
	s_delay_alu instid0(VALU_DEP_1) | instskip(SKIP_3) | instid1(VALU_DEP_3)
	v_add_f32_e32 v15, v41, v15
	v_mul_f32_e32 v41, 0x3f65296c, v125
	v_fmac_f32_e32 v40, 0xbf1a4643, v49
	v_fmac_f32_e32 v36, 0x3f6eb680, v44
	v_fma_f32 v42, 0x3ee437d1, v51, -v41
	s_delay_alu instid0(VALU_DEP_2) | instskip(NEXT) | instid1(VALU_DEP_2)
	v_add_f32_e32 v29, v36, v29
	v_add_f32_e32 v15, v42, v15
	v_mul_f32_e32 v42, 0xbf763a35, v131
	s_delay_alu instid0(VALU_DEP_1) | instskip(NEXT) | instid1(VALU_DEP_1)
	v_fmamk_f32 v43, v56, 0xbe8c1d8e, v42
	v_add_f32_e32 v14, v43, v14
	v_mul_f32_e32 v43, 0xbf763a35, v126
	v_fmac_f32_e32 v39, 0x3f3d2fb0, v47
	s_delay_alu instid0(VALU_DEP_2) | instskip(NEXT) | instid1(VALU_DEP_1)
	v_fma_f32 v64, 0xbe8c1d8e, v53, -v43
	v_dual_fmac_f32 v43, 0xbe8c1d8e, v53 :: v_dual_add_f32 v64, v64, v15
	v_fmamk_f32 v15, v57, 0x3dbcf732, v65
	v_fmac_f32_e32 v37, 0xbf59a7d5, v45
	s_delay_alu instid0(VALU_DEP_2) | instskip(SKIP_2) | instid1(VALU_DEP_4)
	v_add_f32_e32 v15, v15, v14
	v_fma_f32 v14, 0x3dbcf732, v55, -v117
	v_fma_f32 v30, 0x3f3d2fb0, v50, -v32
	v_add_f32_e32 v29, v37, v29
	s_delay_alu instid0(VALU_DEP_3) | instskip(SKIP_1) | instid1(VALU_DEP_4)
	v_dual_add_f32 v14, v14, v64 :: v_dual_lshlrev_b32 v37, 3, v213
	v_mul_f32_e32 v64, 0x3ee437d1, v46
	v_add_f32_e32 v28, v30, v28
	v_fma_f32 v30, 0xbf1a4643, v52, -v33
	v_add_f32_e32 v29, v39, v29
	s_delay_alu instid0(VALU_DEP_4) | instskip(NEXT) | instid1(VALU_DEP_3)
	v_dual_mul_f32 v33, 0xbf1a4643, v53 :: v_dual_add_f32 v64, v226, v64
	v_dual_fmac_f32 v41, 0x3ee437d1, v51 :: v_dual_add_f32 v28, v30, v28
	s_delay_alu instid0(VALU_DEP_3) | instskip(NEXT) | instid1(VALU_DEP_3)
	v_add_f32_e32 v29, v40, v29
	v_dual_sub_f32 v33, v33, v90 :: v_dual_add_f32 v16, v64, v16
	v_mul_f32_e32 v64, 0x3dbcf732, v48
	v_fma_f32 v30, 0x3ee437d1, v54, -v38
	s_delay_alu instid0(VALU_DEP_2) | instskip(NEXT) | instid1(VALU_DEP_2)
	v_dual_add_f32 v29, v41, v29 :: v_dual_add_f32 v64, v227, v64
	v_add_f32_e32 v28, v30, v28
	v_fma_f32 v30, 0xbe8c1d8e, v56, -v42
	s_delay_alu instid0(VALU_DEP_3) | instskip(NEXT) | instid1(VALU_DEP_4)
	v_dual_fmac_f32 v117, 0x3dbcf732, v55 :: v_dual_add_f32 v36, v43, v29
	v_add_f32_e32 v16, v64, v16
	v_mul_f32_e32 v64, 0xbf1a4643, v50
	s_delay_alu instid0(VALU_DEP_4) | instskip(NEXT) | instid1(VALU_DEP_2)
	v_add_f32_e32 v30, v30, v28
	v_add_f32_e32 v64, v228, v64
	s_delay_alu instid0(VALU_DEP_1) | instskip(SKIP_1) | instid1(VALU_DEP_1)
	v_add_f32_e32 v16, v64, v16
	v_mul_f32_e32 v64, 0x3f6eb680, v52
	v_add_f32_e32 v64, v229, v64
	s_delay_alu instid0(VALU_DEP_1) | instskip(NEXT) | instid1(VALU_DEP_1)
	v_add_f32_e32 v16, v64, v16
	v_add_f32_e32 v16, v118, v16
	v_mul_f32_e32 v118, 0x3f3d2fb0, v56
	s_delay_alu instid0(VALU_DEP_1) | instskip(NEXT) | instid1(VALU_DEP_1)
	v_add_f32_e32 v118, v223, v118
	v_add_f32_e32 v16, v118, v16
	v_mul_f32_e32 v118, 0xbe8c1d8e, v57
	s_delay_alu instid0(VALU_DEP_1) | instskip(SKIP_1) | instid1(VALU_DEP_1)
	v_add_f32_e32 v118, v222, v118
	v_mul_f32_e32 v64, 0x3dbcf732, v45
	v_sub_f32_e32 v64, v64, v219
	s_delay_alu instid0(VALU_DEP_1) | instskip(NEXT) | instid1(VALU_DEP_1)
	v_dual_add_f32 v17, v64, v17 :: v_dual_mul_f32 v64, 0xbf1a4643, v47
	v_sub_f32_e32 v64, v64, v218
	s_delay_alu instid0(VALU_DEP_1) | instskip(SKIP_1) | instid1(VALU_DEP_1)
	v_add_f32_e32 v17, v64, v17
	v_mul_f32_e32 v64, 0x3f6eb680, v49
	v_sub_f32_e32 v64, v64, v217
	s_delay_alu instid0(VALU_DEP_1) | instskip(NEXT) | instid1(VALU_DEP_1)
	v_dual_add_f32 v17, v64, v17 :: v_dual_mul_f32 v64, 0xbf7ba420, v51
	v_sub_f32_e32 v64, v64, v216
	s_delay_alu instid0(VALU_DEP_1) | instskip(SKIP_1) | instid1(VALU_DEP_1)
	v_add_f32_e32 v17, v64, v17
	v_mul_f32_e32 v64, 0x3f3d2fb0, v53
	v_sub_f32_e32 v64, v64, v172
	s_delay_alu instid0(VALU_DEP_1) | instskip(NEXT) | instid1(VALU_DEP_1)
	v_dual_add_f32 v64, v64, v17 :: v_dual_mul_f32 v17, 0xbe8c1d8e, v55
	v_sub_f32_e32 v119, v17, v171
	v_add_f32_e32 v17, v118, v16
	v_mul_f32_e32 v118, 0xbe8c1d8e, v44
	s_delay_alu instid0(VALU_DEP_3) | instskip(SKIP_1) | instid1(VALU_DEP_3)
	v_add_f32_e32 v16, v119, v64
	v_mul_f32_e32 v64, 0xbe8c1d8e, v46
	v_sub_f32_e32 v118, v118, v154
	s_delay_alu instid0(VALU_DEP_1) | instskip(SKIP_1) | instid1(VALU_DEP_2)
	v_dual_add_f32 v64, v163, v64 :: v_dual_add_f32 v19, v118, v19
	v_mul_f32_e32 v118, 0x3f3d2fb0, v54
	v_add_f32_e32 v18, v64, v18
	v_mul_f32_e32 v64, 0x3f6eb680, v48
	s_delay_alu instid0(VALU_DEP_3) | instskip(NEXT) | instid1(VALU_DEP_2)
	v_add_f32_e32 v118, v167, v118
	v_add_f32_e32 v64, v164, v64
	s_delay_alu instid0(VALU_DEP_1) | instskip(SKIP_1) | instid1(VALU_DEP_1)
	v_add_f32_e32 v18, v64, v18
	v_mul_f32_e32 v64, 0xbf59a7d5, v50
	v_add_f32_e32 v64, v166, v64
	s_delay_alu instid0(VALU_DEP_1) | instskip(SKIP_1) | instid1(VALU_DEP_1)
	v_add_f32_e32 v18, v64, v18
	v_mul_f32_e32 v64, 0x3dbcf732, v52
	v_add_f32_e32 v64, v168, v64
	s_delay_alu instid0(VALU_DEP_1) | instskip(SKIP_1) | instid1(VALU_DEP_2)
	v_add_f32_e32 v18, v64, v18
	v_mul_f32_e32 v64, 0x3f6eb680, v45
	v_add_f32_e32 v18, v118, v18
	s_delay_alu instid0(VALU_DEP_2) | instskip(NEXT) | instid1(VALU_DEP_1)
	v_sub_f32_e32 v64, v64, v155
	v_dual_mul_f32 v118, 0xbf7ba420, v56 :: v_dual_add_f32 v19, v64, v19
	v_mul_f32_e32 v64, 0xbf59a7d5, v47
	s_delay_alu instid0(VALU_DEP_2) | instskip(NEXT) | instid1(VALU_DEP_2)
	v_add_f32_e32 v118, v165, v118
	v_sub_f32_e32 v64, v64, v156
	s_delay_alu instid0(VALU_DEP_2) | instskip(NEXT) | instid1(VALU_DEP_2)
	v_add_f32_e32 v18, v118, v18
	v_dual_mul_f32 v118, 0x3ee437d1, v57 :: v_dual_add_f32 v19, v64, v19
	v_mul_f32_e32 v64, 0x3dbcf732, v49
	s_delay_alu instid0(VALU_DEP_2) | instskip(NEXT) | instid1(VALU_DEP_2)
	v_add_f32_e32 v118, v162, v118
	v_sub_f32_e32 v64, v64, v157
	s_delay_alu instid0(VALU_DEP_1) | instskip(SKIP_1) | instid1(VALU_DEP_1)
	v_add_f32_e32 v19, v64, v19
	v_mul_f32_e32 v64, 0x3f3d2fb0, v51
	v_sub_f32_e32 v64, v64, v158
	s_delay_alu instid0(VALU_DEP_1) | instskip(NEXT) | instid1(VALU_DEP_1)
	v_dual_add_f32 v19, v64, v19 :: v_dual_mul_f32 v64, 0xbf7ba420, v53
	v_sub_f32_e32 v64, v64, v159
	s_delay_alu instid0(VALU_DEP_1) | instskip(SKIP_1) | instid1(VALU_DEP_1)
	v_add_f32_e32 v64, v64, v19
	v_mul_f32_e32 v19, 0x3ee437d1, v55
	v_sub_f32_e32 v119, v19, v160
	v_dual_add_f32 v19, v118, v18 :: v_dual_mul_f32 v118, 0xbf59a7d5, v44
	s_delay_alu instid0(VALU_DEP_2) | instskip(SKIP_1) | instid1(VALU_DEP_3)
	v_add_f32_e32 v18, v119, v64
	v_mul_f32_e32 v64, 0xbf59a7d5, v46
	v_sub_f32_e32 v118, v118, v143
	s_delay_alu instid0(VALU_DEP_1) | instskip(SKIP_1) | instid1(VALU_DEP_2)
	v_dual_add_f32 v64, v151, v64 :: v_dual_add_f32 v21, v118, v21
	v_mul_f32_e32 v118, 0x3f3d2fb0, v45
	v_add_f32_e32 v20, v64, v20
	v_mul_f32_e32 v64, 0x3f3d2fb0, v48
	s_delay_alu instid0(VALU_DEP_3) | instskip(NEXT) | instid1(VALU_DEP_1)
	v_sub_f32_e32 v118, v118, v142
	v_dual_add_f32 v64, v152, v64 :: v_dual_add_f32 v21, v118, v21
	v_mul_f32_e32 v118, 0x3ee437d1, v47
	s_delay_alu instid0(VALU_DEP_2) | instskip(SKIP_1) | instid1(VALU_DEP_3)
	v_add_f32_e32 v20, v64, v20
	v_mul_f32_e32 v64, 0x3ee437d1, v50
	v_sub_f32_e32 v118, v118, v141
	s_delay_alu instid0(VALU_DEP_1) | instskip(SKIP_1) | instid1(VALU_DEP_2)
	v_dual_add_f32 v64, v149, v64 :: v_dual_add_f32 v21, v118, v21
	v_mul_f32_e32 v118, 0xbf7ba420, v49
	v_add_f32_e32 v20, v64, v20
	v_mul_f32_e32 v64, 0xbf7ba420, v52
	s_delay_alu instid0(VALU_DEP_3) | instskip(NEXT) | instid1(VALU_DEP_1)
	v_sub_f32_e32 v118, v118, v140
	v_dual_add_f32 v64, v148, v64 :: v_dual_add_f32 v21, v118, v21
	v_mul_f32_e32 v118, 0x3dbcf732, v51
	s_delay_alu instid0(VALU_DEP_2) | instskip(SKIP_1) | instid1(VALU_DEP_3)
	v_add_f32_e32 v20, v64, v20
	v_mul_f32_e32 v64, 0x3dbcf732, v54
	v_sub_f32_e32 v118, v118, v139
	s_delay_alu instid0(VALU_DEP_1) | instskip(SKIP_1) | instid1(VALU_DEP_2)
	v_dual_add_f32 v64, v147, v64 :: v_dual_add_f32 v21, v118, v21
	v_mul_f32_e32 v118, 0xbf1a4643, v57
	v_add_f32_e32 v20, v64, v20
	v_mul_f32_e32 v64, 0x3f6eb680, v56
	s_delay_alu instid0(VALU_DEP_3) | instskip(NEXT) | instid1(VALU_DEP_2)
	v_add_f32_e32 v118, v144, v118
	v_add_f32_e32 v64, v145, v64
	s_delay_alu instid0(VALU_DEP_1) | instskip(SKIP_1) | instid1(VALU_DEP_1)
	v_add_f32_e32 v20, v64, v20
	v_mul_f32_e32 v64, 0x3f6eb680, v53
	v_sub_f32_e32 v64, v64, v138
	s_delay_alu instid0(VALU_DEP_1) | instskip(NEXT) | instid1(VALU_DEP_1)
	v_dual_add_f32 v64, v64, v21 :: v_dual_mul_f32 v21, 0xbf1a4643, v55
	v_sub_f32_e32 v119, v21, v137
	v_add_f32_e32 v21, v118, v20
	s_delay_alu instid0(VALU_DEP_2) | instskip(SKIP_1) | instid1(VALU_DEP_1)
	v_add_f32_e32 v20, v119, v64
	v_mul_f32_e32 v64, 0xbf1a4643, v46
	v_add_f32_e32 v64, v113, v64
	s_delay_alu instid0(VALU_DEP_1) | instskip(NEXT) | instid1(VALU_DEP_1)
	v_dual_mul_f32 v113, 0xbf1a4643, v44 :: v_dual_add_f32 v22, v64, v22
	v_dual_mul_f32 v64, 0xbf7ba420, v48 :: v_dual_sub_f32 v109, v113, v109
	s_delay_alu instid0(VALU_DEP_1) | instskip(NEXT) | instid1(VALU_DEP_1)
	v_dual_add_f32 v64, v114, v64 :: v_dual_add_f32 v23, v109, v23
	v_add_f32_e32 v22, v64, v22
	v_mul_f32_e32 v64, 0xbe8c1d8e, v50
	s_delay_alu instid0(VALU_DEP_1) | instskip(NEXT) | instid1(VALU_DEP_1)
	v_add_f32_e32 v64, v115, v64
	v_add_f32_e32 v22, v64, v22
	v_mul_f32_e32 v64, 0x3f3d2fb0, v52
	s_delay_alu instid0(VALU_DEP_1) | instskip(NEXT) | instid1(VALU_DEP_1)
	v_add_f32_e32 v64, v116, v64
	v_add_f32_e32 v22, v64, v22
	v_mul_f32_e32 v64, 0xbf7ba420, v45
	s_delay_alu instid0(VALU_DEP_1) | instskip(NEXT) | instid1(VALU_DEP_1)
	v_sub_f32_e32 v64, v64, v108
	v_dual_mul_f32 v108, 0x3f6eb680, v54 :: v_dual_add_f32 v23, v64, v23
	v_mul_f32_e32 v64, 0xbe8c1d8e, v47
	s_delay_alu instid0(VALU_DEP_2) | instskip(NEXT) | instid1(VALU_DEP_2)
	v_add_f32_e32 v108, v112, v108
	v_sub_f32_e32 v64, v64, v107
	s_delay_alu instid0(VALU_DEP_2) | instskip(NEXT) | instid1(VALU_DEP_2)
	v_add_f32_e32 v22, v108, v22
	v_dual_add_f32 v23, v64, v23 :: v_dual_mul_f32 v64, 0x3f3d2fb0, v49
	s_delay_alu instid0(VALU_DEP_1) | instskip(NEXT) | instid1(VALU_DEP_1)
	v_sub_f32_e32 v64, v64, v106
	v_dual_mul_f32 v106, 0x3dbcf732, v56 :: v_dual_add_f32 v23, v64, v23
	v_mul_f32_e32 v64, 0x3f6eb680, v51
	s_delay_alu instid0(VALU_DEP_2) | instskip(NEXT) | instid1(VALU_DEP_2)
	v_add_f32_e32 v106, v111, v106
	v_sub_f32_e32 v64, v64, v105
	s_delay_alu instid0(VALU_DEP_1) | instskip(SKIP_1) | instid1(VALU_DEP_1)
	v_dual_add_f32 v22, v106, v22 :: v_dual_add_f32 v23, v64, v23
	v_mul_f32_e32 v64, 0x3dbcf732, v53
	v_sub_f32_e32 v64, v64, v104
	v_mul_f32_e32 v104, 0xbf59a7d5, v57
	s_delay_alu instid0(VALU_DEP_2) | instskip(NEXT) | instid1(VALU_DEP_2)
	v_add_f32_e32 v64, v64, v23
	v_dual_mul_f32 v23, 0xbf59a7d5, v55 :: v_dual_add_f32 v104, v110, v104
	s_delay_alu instid0(VALU_DEP_1) | instskip(NEXT) | instid1(VALU_DEP_1)
	v_sub_f32_e32 v103, v23, v103
	v_dual_add_f32 v23, v104, v22 :: v_dual_add_f32 v22, v103, v64
	v_mul_f32_e32 v64, 0x3f3d2fb0, v46
	s_delay_alu instid0(VALU_DEP_1) | instskip(SKIP_1) | instid1(VALU_DEP_2)
	v_add_f32_e32 v60, v60, v64
	v_mul_f32_e32 v64, 0x3f3d2fb0, v44
	v_add_f32_e32 v24, v60, v24
	s_delay_alu instid0(VALU_DEP_2) | instskip(NEXT) | instid1(VALU_DEP_1)
	v_sub_f32_e32 v58, v64, v58
	v_dual_mul_f32 v60, 0x3ee437d1, v48 :: v_dual_add_f32 v25, v58, v25
	v_mul_f32_e32 v58, 0x3ee437d1, v45
	s_delay_alu instid0(VALU_DEP_2) | instskip(NEXT) | instid1(VALU_DEP_2)
	v_add_f32_e32 v60, v62, v60
	v_dual_sub_f32 v58, v58, v59 :: v_dual_mul_f32 v59, 0x3dbcf732, v50
	s_delay_alu instid0(VALU_DEP_1) | instskip(SKIP_1) | instid1(VALU_DEP_3)
	v_dual_add_f32 v24, v60, v24 :: v_dual_add_f32 v25, v58, v25
	v_mul_f32_e32 v58, 0x3dbcf732, v47
	v_add_f32_e32 v59, v66, v59
	s_delay_alu instid0(VALU_DEP_2) | instskip(NEXT) | instid1(VALU_DEP_2)
	v_sub_f32_e32 v58, v58, v61
	v_add_f32_e32 v24, v59, v24
	v_mul_f32_e32 v59, 0xbe8c1d8e, v52
	s_delay_alu instid0(VALU_DEP_3) | instskip(NEXT) | instid1(VALU_DEP_2)
	v_add_f32_e32 v25, v58, v25
	v_dual_mul_f32 v58, 0xbe8c1d8e, v49 :: v_dual_add_f32 v59, v68, v59
	s_delay_alu instid0(VALU_DEP_1) | instskip(NEXT) | instid1(VALU_DEP_2)
	v_sub_f32_e32 v58, v58, v63
	v_dual_add_f32 v24, v59, v24 :: v_dual_mul_f32 v59, 0xbf1a4643, v54
	s_delay_alu instid0(VALU_DEP_2) | instskip(NEXT) | instid1(VALU_DEP_2)
	v_dual_add_f32 v25, v58, v25 :: v_dual_mul_f32 v58, 0xbf1a4643, v51
	v_add_f32_e32 v59, v70, v59
	s_delay_alu instid0(VALU_DEP_2) | instskip(NEXT) | instid1(VALU_DEP_2)
	v_sub_f32_e32 v58, v58, v67
	v_add_f32_e32 v24, v59, v24
	v_mul_f32_e32 v59, 0xbf59a7d5, v56
	s_delay_alu instid0(VALU_DEP_3) | instskip(NEXT) | instid1(VALU_DEP_2)
	v_add_f32_e32 v25, v58, v25
	v_dual_mul_f32 v58, 0xbf59a7d5, v53 :: v_dual_add_f32 v59, v73, v59
	s_delay_alu instid0(VALU_DEP_1) | instskip(NEXT) | instid1(VALU_DEP_2)
	v_sub_f32_e32 v58, v58, v69
	v_dual_add_f32 v24, v59, v24 :: v_dual_mul_f32 v59, 0xbf7ba420, v57
	s_delay_alu instid0(VALU_DEP_2) | instskip(NEXT) | instid1(VALU_DEP_2)
	v_dual_add_f32 v58, v58, v25 :: v_dual_mul_f32 v25, 0xbf7ba420, v55
	v_add_f32_e32 v59, v79, v59
	s_delay_alu instid0(VALU_DEP_1) | instskip(NEXT) | instid1(VALU_DEP_1)
	v_dual_sub_f32 v60, v25, v71 :: v_dual_add_f32 v25, v59, v24
	v_dual_mul_f32 v59, 0x3dbcf732, v44 :: v_dual_add_f32 v24, v60, v58
	s_delay_alu instid0(VALU_DEP_1) | instskip(NEXT) | instid1(VALU_DEP_1)
	v_dual_mul_f32 v58, 0x3dbcf732, v46 :: v_dual_sub_f32 v59, v59, v72
	v_dual_add_f32 v58, v82, v58 :: v_dual_add_f32 v27, v59, v27
	s_delay_alu instid0(VALU_DEP_1) | instskip(NEXT) | instid1(VALU_DEP_1)
	v_dual_mul_f32 v59, 0xbf1a4643, v45 :: v_dual_add_f32 v26, v58, v26
	v_dual_mul_f32 v58, 0xbf1a4643, v48 :: v_dual_sub_f32 v59, v59, v74
	s_delay_alu instid0(VALU_DEP_1) | instskip(NEXT) | instid1(VALU_DEP_2)
	v_add_f32_e32 v58, v83, v58
	v_add_f32_e32 v27, v59, v27
	s_delay_alu instid0(VALU_DEP_2) | instskip(NEXT) | instid1(VALU_DEP_1)
	v_dual_mul_f32 v59, 0xbf7ba420, v47 :: v_dual_add_f32 v26, v58, v26
	v_dual_mul_f32 v58, 0xbf7ba420, v50 :: v_dual_sub_f32 v59, v59, v75
	s_delay_alu instid0(VALU_DEP_1) | instskip(NEXT) | instid1(VALU_DEP_1)
	v_dual_add_f32 v58, v85, v58 :: v_dual_add_f32 v27, v59, v27
	v_dual_mul_f32 v59, 0xbf59a7d5, v49 :: v_dual_add_f32 v26, v58, v26
	v_mul_f32_e32 v58, 0xbf59a7d5, v52
	s_delay_alu instid0(VALU_DEP_1) | instskip(NEXT) | instid1(VALU_DEP_1)
	v_dual_sub_f32 v59, v59, v76 :: v_dual_add_f32 v58, v86, v58
	v_add_f32_e32 v27, v59, v27
	s_delay_alu instid0(VALU_DEP_2) | instskip(NEXT) | instid1(VALU_DEP_1)
	v_dual_mul_f32 v59, 0xbe8c1d8e, v51 :: v_dual_add_f32 v26, v58, v26
	v_dual_mul_f32 v58, 0xbe8c1d8e, v54 :: v_dual_sub_f32 v59, v59, v77
	s_delay_alu instid0(VALU_DEP_1) | instskip(NEXT) | instid1(VALU_DEP_2)
	v_add_f32_e32 v58, v87, v58
	v_add_f32_e32 v27, v59, v27
	s_delay_alu instid0(VALU_DEP_2) | instskip(NEXT) | instid1(VALU_DEP_1)
	v_dual_mul_f32 v59, 0x3f6eb680, v57 :: v_dual_add_f32 v26, v58, v26
	v_dual_mul_f32 v58, 0x3ee437d1, v56 :: v_dual_add_f32 v59, v81, v59
	s_delay_alu instid0(VALU_DEP_1) | instskip(NEXT) | instid1(VALU_DEP_1)
	v_add_f32_e32 v58, v88, v58
	v_add_f32_e32 v26, v58, v26
	v_mul_f32_e32 v58, 0x3ee437d1, v53
	s_delay_alu instid0(VALU_DEP_1) | instskip(NEXT) | instid1(VALU_DEP_1)
	v_sub_f32_e32 v58, v58, v78
	v_add_f32_e32 v58, v58, v27
	v_mul_f32_e32 v27, 0x3f6eb680, v55
	s_delay_alu instid0(VALU_DEP_1) | instskip(SKIP_3) | instid1(VALU_DEP_4)
	v_sub_f32_e32 v60, v27, v80
	v_add_f32_e32 v27, v59, v26
	v_mul_f32_e32 v59, 0xbf7ba420, v44
	v_mul_f32_e32 v44, 0xbf1a4643, v56
	v_add_f32_e32 v26, v60, v58
	v_mul_f32_e32 v58, 0xbf7ba420, v46
	s_delay_alu instid0(VALU_DEP_3) | instskip(NEXT) | instid1(VALU_DEP_1)
	v_dual_sub_f32 v59, v59, v94 :: v_dual_add_f32 v44, v93, v44
	v_dual_add_f32 v58, v98, v58 :: v_dual_add_f32 v35, v59, v35
	s_delay_alu instid0(VALU_DEP_1) | instskip(NEXT) | instid1(VALU_DEP_1)
	v_dual_mul_f32 v59, 0xbe8c1d8e, v45 :: v_dual_add_f32 v34, v58, v34
	v_dual_mul_f32 v58, 0xbe8c1d8e, v48 :: v_dual_sub_f32 v59, v59, v95
	s_delay_alu instid0(VALU_DEP_1) | instskip(NEXT) | instid1(VALU_DEP_2)
	v_add_f32_e32 v58, v99, v58
	v_add_f32_e32 v35, v59, v35
	s_delay_alu instid0(VALU_DEP_2) | instskip(NEXT) | instid1(VALU_DEP_1)
	v_dual_mul_f32 v59, 0x3f6eb680, v47 :: v_dual_add_f32 v34, v58, v34
	v_dual_mul_f32 v58, 0x3f6eb680, v50 :: v_dual_sub_f32 v59, v59, v96
	s_delay_alu instid0(VALU_DEP_1) | instskip(NEXT) | instid1(VALU_DEP_1)
	v_dual_add_f32 v58, v100, v58 :: v_dual_add_f32 v35, v59, v35
	v_dual_mul_f32 v59, 0x3ee437d1, v49 :: v_dual_add_f32 v34, v58, v34
	s_delay_alu instid0(VALU_DEP_1) | instskip(NEXT) | instid1(VALU_DEP_1)
	v_dual_mul_f32 v58, 0x3ee437d1, v52 :: v_dual_sub_f32 v59, v59, v97
	v_dual_add_f32 v58, v101, v58 :: v_dual_add_f32 v35, v59, v35
	s_delay_alu instid0(VALU_DEP_1) | instskip(NEXT) | instid1(VALU_DEP_2)
	v_add_f32_e32 v34, v58, v34
	v_dual_mul_f32 v58, 0xbf59a7d5, v54 :: v_dual_add_f32 v31, v31, v35
	v_fma_f32 v35, 0x3dbcf732, v57, -v65
	s_delay_alu instid0(VALU_DEP_2) | instskip(NEXT) | instid1(VALU_DEP_1)
	v_dual_add_f32 v58, v102, v58 :: v_dual_add_f32 v31, v33, v31
	v_dual_mul_f32 v33, 0x3f3d2fb0, v55 :: v_dual_add_f32 v34, v58, v34
	s_delay_alu instid0(VALU_DEP_1) | instskip(SKIP_1) | instid1(VALU_DEP_2)
	v_dual_sub_f32 v33, v33, v89 :: v_dual_add_f32 v32, v44, v34
	v_mul_f32_e32 v34, 0x3f3d2fb0, v57
	v_dual_add_f32 v28, v33, v31 :: v_dual_add_f32 v31, v35, v30
	v_add_f32_e32 v30, v117, v36
	s_delay_alu instid0(VALU_DEP_3) | instskip(NEXT) | instid1(VALU_DEP_1)
	v_add_f32_e32 v34, v91, v34
	v_add_f32_e32 v29, v34, v32
	ds_store_2addr_b64 v37, v[12:13], v[24:25] offset1:1
	ds_store_2addr_b64 v37, v[26:27], v[22:23] offset0:2 offset1:3
	ds_store_2addr_b64 v37, v[28:29], v[20:21] offset0:4 offset1:5
	;; [unrolled: 1-line block ×7, first 2 shown]
	ds_store_b64 v37, v[210:211] offset:128
.LBB0_7:
	s_wait_alu 0xfffe
	s_or_b32 exec_lo, exec_lo, s2
	v_add_co_u32 v88, null, 0x66, v197
	v_add_nc_u32_e32 v139, 0x1800, v212
	global_wb scope:SCOPE_SE
	s_wait_dscnt 0x0
	s_barrier_signal -1
	s_barrier_wait -1
	global_inv scope:SCOPE_SE
	v_add_co_u32 v89, null, 0x99, v197
	ds_load_2addr_b64 v[32:35], v139 offset0:150 offset1:201
	v_and_b32_e32 v52, 0xff, v88
	v_and_b32_e32 v12, 0xff, v197
	v_and_b32_e32 v24, 0xff, v89
	v_and_b32_e32 v13, 0xff, v84
	v_add_nc_u32_e32 v141, 0x1000, v212
	v_mul_lo_u16 v20, 0xf1, v52
	v_mul_lo_u16 v12, 0xf1, v12
	;; [unrolled: 1-line block ×4, first 2 shown]
	ds_load_2addr_b64 v[38:41], v141 offset0:100 offset1:151
	v_lshrrev_b16 v30, 12, v20
	v_lshrrev_b16 v53, 12, v12
	v_lshrrev_b16 v77, 12, v24
	v_lshrrev_b16 v28, 12, v13
	v_add_nc_u32_e32 v153, 0x1c00, v212
	v_mul_lo_u16 v20, v30, 17
	v_mul_lo_u16 v12, v53, 17
	;; [unrolled: 1-line block ×4, first 2 shown]
	v_add_co_u32 v96, null, 0xff, v197
	v_sub_nc_u16 v20, v88, v20
	v_sub_nc_u16 v54, v197, v12
	;; [unrolled: 1-line block ×4, first 2 shown]
	v_add_co_u32 v97, null, 0xcc, v197
	v_and_b32_e32 v31, 0xff, v20
	v_lshlrev_b16 v13, 1, v54
	v_and_b32_e32 v78, 0xff, v24
	v_and_b32_e32 v29, 0xff, v12
	v_add_co_u32 v104, null, 0x132, v197
	v_lshlrev_b32_e32 v20, 4, v31
	v_and_b32_e32 v12, 0xfe, v13
	v_add_co_u32 v105, null, 0x165, v197
	v_add_co_u32 v112, null, 0x198, v197
	global_load_b128 v[20:23], v20, s[0:1]
	v_lshlrev_b32_e32 v24, 4, v78
	v_lshlrev_b32_e32 v16, 3, v12
	v_mad_u16 v61, v53, 51, v54
	v_lshlrev_b32_e32 v84, 4, v84
	v_add_nc_u32_e32 v154, 0x2000, v212
	global_load_b128 v[24:27], v24, s[0:1]
	v_lshlrev_b32_e32 v13, 4, v29
	global_load_b128 v[16:19], v16, s[0:1]
	v_add_nc_u32_e32 v140, 0xc00, v212
	v_add_nc_u32_e32 v142, 0x800, v212
	v_and_b32_e32 v28, 0xffff, v28
	global_load_b128 v[12:15], v13, s[0:1]
	v_and_b32_e32 v30, 0xffff, v30
	v_lshlrev_b32_e32 v89, 4, v89
	v_mul_u32_u24_e32 v28, 51, v28
	s_delay_alu instid0(VALU_DEP_3)
	v_mul_u32_u24_e32 v30, 51, v30
	s_wait_loadcnt 0x3
	scratch_store_b128 off, v[20:23], off offset:64 ; 16-byte Folded Spill
	s_wait_loadcnt 0x2
	scratch_store_b128 off, v[24:27], off offset:80 ; 16-byte Folded Spill
	s_wait_loadcnt_dscnt 0x101
	v_mul_f32_e32 v37, v33, v19
	v_mul_f32_e32 v59, v32, v19
	s_wait_loadcnt 0x0
	v_mul_f32_e32 v36, v35, v15
	v_mul_f32_e32 v79, v34, v15
	v_fma_f32 v60, v32, v18, -v37
	v_fmac_f32_e32 v59, v33, v18
	scratch_store_b128 off, v[12:15], off offset:32 ; 16-byte Folded Spill
	v_fma_f32 v80, v34, v14, -v36
	v_fmac_f32_e32 v79, v35, v14
	ds_load_2addr_b64 v[32:35], v140 offset0:126 offset1:177
	v_mul_lo_u16 v52, 0xa1, v52
	s_delay_alu instid0(VALU_DEP_1) | instskip(NEXT) | instid1(VALU_DEP_1)
	v_lshrrev_b16 v52, 13, v52
	v_mul_lo_u16 v52, v52, 51
	s_delay_alu instid0(VALU_DEP_1)
	v_sub_nc_u16 v52, v88, v52
	v_lshlrev_b32_e32 v88, 4, v88
	s_wait_dscnt 0x0
	v_mul_f32_e32 v36, v33, v13
	v_mul_f32_e32 v81, v32, v13
	;; [unrolled: 1-line block ×3, first 2 shown]
	s_delay_alu instid0(VALU_DEP_3) | instskip(NEXT) | instid1(VALU_DEP_3)
	v_fma_f32 v82, v32, v12, -v36
	v_dual_mul_f32 v32, v35, v21 :: v_dual_fmac_f32 v81, v33, v12
	s_delay_alu instid0(VALU_DEP_3) | instskip(NEXT) | instid1(VALU_DEP_2)
	v_fmac_f32_e32 v85, v35, v20
	v_fma_f32 v83, v34, v20, -v32
	ds_load_2addr_b64 v[32:35], v153 offset0:124 offset1:175
	s_wait_dscnt 0x0
	v_mul_f32_e32 v36, v33, v23
	v_mul_f32_e32 v87, v32, v23
	;; [unrolled: 1-line block ×3, first 2 shown]
	s_delay_alu instid0(VALU_DEP_3) | instskip(NEXT) | instid1(VALU_DEP_3)
	v_fma_f32 v86, v32, v22, -v36
	v_dual_mul_f32 v32, v35, v27 :: v_dual_fmac_f32 v87, v33, v22
	v_and_b32_e32 v33, 0xff, v97
	s_delay_alu instid0(VALU_DEP_2) | instskip(SKIP_1) | instid1(VALU_DEP_3)
	v_fma_f32 v90, v34, v26, -v32
	v_and_b32_e32 v32, 0xffff, v96
	v_mul_lo_u16 v33, 0xf1, v33
	s_delay_alu instid0(VALU_DEP_2) | instskip(NEXT) | instid1(VALU_DEP_2)
	v_mul_u32_u24_e32 v32, 0xf0f1, v32
	v_lshrrev_b16 v93, 12, v33
	s_delay_alu instid0(VALU_DEP_2) | instskip(NEXT) | instid1(VALU_DEP_1)
	v_lshrrev_b32_e32 v92, 20, v32
	v_mul_lo_u16 v32, v92, 17
	s_delay_alu instid0(VALU_DEP_1) | instskip(NEXT) | instid1(VALU_DEP_4)
	v_sub_nc_u16 v94, v96, v32
	v_mul_lo_u16 v32, v93, 17
	s_delay_alu instid0(VALU_DEP_2) | instskip(NEXT) | instid1(VALU_DEP_2)
	v_lshlrev_b16 v33, 1, v94
	v_sub_nc_u16 v32, v97, v32
	v_lshlrev_b32_e32 v97, 4, v97
	s_delay_alu instid0(VALU_DEP_3) | instskip(NEXT) | instid1(VALU_DEP_3)
	v_and_b32_e32 v33, 0xffff, v33
	v_and_b32_e32 v95, 0xff, v32
	s_delay_alu instid0(VALU_DEP_2) | instskip(SKIP_1) | instid1(VALU_DEP_1)
	v_lshlrev_b32_e32 v32, 3, v33
	v_mul_f32_e32 v33, v39, v25
	v_fma_f32 v98, v38, v24, -v33
	s_delay_alu instid0(VALU_DEP_4)
	v_lshlrev_b32_e32 v33, 4, v95
	s_clause 0x1
	global_load_b128 v[20:23], v33, s[0:1]
	global_load_b128 v[12:15], v32, s[0:1]
	ds_load_2addr_b64 v[46:49], v141 offset0:202 offset1:253
	s_wait_loadcnt 0x1
	v_mul_f32_e32 v42, v41, v21
	v_mul_f32_e32 v101, v40, v21
	s_wait_loadcnt_dscnt 0x0
	v_mul_f32_e32 v114, v46, v13
	s_clause 0x1
	scratch_store_b128 off, v[20:23], off offset:124
	scratch_store_b128 off, v[12:15], off offset:104
	v_fma_f32 v100, v40, v20, -v42
	v_fmac_f32_e32 v101, v41, v20
	ds_load_2addr_b64 v[40:43], v154 offset0:98 offset1:149
	v_fmac_f32_e32 v91, v35, v26
	v_fmac_f32_e32 v114, v47, v12
	s_wait_dscnt 0x0
	v_mul_f32_e32 v44, v41, v23
	v_mul_f32_e32 v103, v40, v23
	;; [unrolled: 1-line block ×3, first 2 shown]
	s_delay_alu instid0(VALU_DEP_3) | instskip(NEXT) | instid1(VALU_DEP_3)
	v_fma_f32 v102, v40, v22, -v44
	v_dual_mul_f32 v40, v43, v15 :: v_dual_fmac_f32 v103, v41, v22
	v_and_b32_e32 v41, 0xffff, v105
	s_delay_alu instid0(VALU_DEP_4) | instskip(NEXT) | instid1(VALU_DEP_3)
	v_fmac_f32_e32 v107, v43, v14
	v_fma_f32 v106, v42, v14, -v40
	v_and_b32_e32 v40, 0xffff, v104
	s_delay_alu instid0(VALU_DEP_4) | instskip(SKIP_1) | instid1(VALU_DEP_3)
	v_mul_u32_u24_e32 v41, 0xf0f1, v41
	v_mul_f32_e32 v42, v47, v13
	v_mul_u32_u24_e32 v40, 0xf0f1, v40
	s_delay_alu instid0(VALU_DEP_3) | instskip(NEXT) | instid1(VALU_DEP_3)
	v_lshrrev_b32_e32 v109, 20, v41
	v_fma_f32 v113, v46, v12, -v42
	s_delay_alu instid0(VALU_DEP_3) | instskip(NEXT) | instid1(VALU_DEP_1)
	v_lshrrev_b32_e32 v108, 20, v40
	v_mul_lo_u16 v40, v108, 17
	s_delay_alu instid0(VALU_DEP_1) | instskip(SKIP_2) | instid1(VALU_DEP_2)
	v_sub_nc_u16 v110, v104, v40
	v_mul_lo_u16 v40, v109, 17
	v_lshlrev_b32_e32 v104, 4, v104
	v_sub_nc_u16 v111, v105, v40
	s_delay_alu instid0(VALU_DEP_4) | instskip(SKIP_2) | instid1(VALU_DEP_4)
	v_lshlrev_b16 v40, 1, v110
	v_mul_f32_e32 v99, v38, v25
	v_lshlrev_b32_e32 v105, 4, v105
	v_lshlrev_b16 v41, 1, v111
	s_delay_alu instid0(VALU_DEP_4) | instskip(NEXT) | instid1(VALU_DEP_2)
	v_and_b32_e32 v40, 0xffff, v40
	v_and_b32_e32 v41, 0xffff, v41
	s_delay_alu instid0(VALU_DEP_2) | instskip(NEXT) | instid1(VALU_DEP_2)
	v_lshlrev_b32_e32 v40, 3, v40
	v_lshlrev_b32_e32 v41, 3, v41
	s_clause 0x1
	global_load_b128 v[12:15], v40, s[0:1]
	global_load_b128 v[40:43], v41, s[0:1]
	v_fmac_f32_e32 v99, v39, v24
	scratch_store_b128 off, v[16:19], off offset:48 ; 16-byte Folded Spill
	s_wait_loadcnt 0x1
	v_mul_f32_e32 v50, v49, v13
	v_mul_f32_e32 v116, v48, v13
	scratch_store_b128 off, v[12:15], off offset:152 ; 16-byte Folded Spill
	v_fma_f32 v115, v48, v12, -v50
	v_fmac_f32_e32 v116, v49, v12
	ds_load_2addr_b64 v[48:51], v154 offset0:200 offset1:251
	v_add_lshl_u32 v12, v28, v29, 3
	s_wait_dscnt 0x0
	v_mul_f32_e32 v55, v49, v15
	v_mul_f32_e32 v118, v48, v15
	s_wait_loadcnt 0x0
	v_mul_f32_e32 v120, v50, v43
	s_delay_alu instid0(VALU_DEP_3)
	v_fma_f32 v117, v48, v14, -v55
	v_mul_f32_e32 v48, v51, v43
	ds_load_2addr_b64 v[55:58], v139 offset0:48 offset1:99
	v_fmac_f32_e32 v118, v49, v14
	v_fmac_f32_e32 v120, v51, v42
	v_fma_f32 v119, v50, v42, -v48
	v_and_b32_e32 v48, 0xffff, v112
	s_delay_alu instid0(VALU_DEP_1) | instskip(NEXT) | instid1(VALU_DEP_1)
	v_mul_u32_u24_e32 v48, 0xf0f1, v48
	v_lshrrev_b32_e32 v121, 20, v48
	s_delay_alu instid0(VALU_DEP_1) | instskip(SKIP_3) | instid1(VALU_DEP_3)
	v_mul_lo_u16 v48, v121, 17
	s_wait_dscnt 0x0
	v_mul_f32_e32 v49, v56, v41
	v_mul_f32_e32 v124, v55, v41
	v_sub_nc_u16 v122, v112, v48
	s_delay_alu instid0(VALU_DEP_3) | instskip(NEXT) | instid1(VALU_DEP_3)
	v_fma_f32 v123, v55, v40, -v49
	v_fmac_f32_e32 v124, v56, v40
	v_lshlrev_b32_e32 v112, 4, v112
	s_delay_alu instid0(VALU_DEP_4) | instskip(NEXT) | instid1(VALU_DEP_1)
	v_lshlrev_b16 v48, 1, v122
	v_and_b32_e32 v48, 0xffff, v48
	s_delay_alu instid0(VALU_DEP_1) | instskip(SKIP_3) | instid1(VALU_DEP_1)
	v_lshlrev_b32_e32 v48, 3, v48
	global_load_b128 v[20:23], v48, s[0:1]
	s_wait_loadcnt 0x0
	v_mul_f32_e32 v55, v58, v21
	v_fma_f32 v125, v57, v20, -v55
	ds_load_2addr_b64 v[53:56], v142 offset0:152 offset1:203
	s_wait_dscnt 0x0
	v_mul_f32_e32 v63, v55, v17
	s_delay_alu instid0(VALU_DEP_1) | instskip(SKIP_1) | instid1(VALU_DEP_2)
	v_dual_fmac_f32 v63, v56, v16 :: v_dual_mul_f32 v126, v57, v21
	v_mul_f32_e32 v57, v56, v17
	v_dual_sub_f32 v127, v63, v59 :: v_dual_fmac_f32 v126, v58, v20
	s_delay_alu instid0(VALU_DEP_2)
	v_fma_f32 v62, v55, v16, -v57
	ds_load_2addr_b64 v[55:58], v212 offset1:51
	v_sub_f32_e32 v128, v62, v60
	s_wait_dscnt 0x0
	v_add_f32_e32 v64, v56, v63
	v_add_f32_e32 v63, v63, v59
	s_delay_alu instid0(VALU_DEP_2) | instskip(NEXT) | instid1(VALU_DEP_2)
	v_dual_add_f32 v72, v64, v59 :: v_dual_add_f32 v59, v55, v62
	v_fma_f32 v56, -0.5, v63, v56
	s_delay_alu instid0(VALU_DEP_1) | instskip(SKIP_2) | instid1(VALU_DEP_2)
	v_dual_add_f32 v71, v59, v60 :: v_dual_fmamk_f32 v74, v128, 0xbf5db3d7, v56
	v_add_f32_e32 v59, v62, v60
	v_fmac_f32_e32 v56, 0x3f5db3d7, v128
	v_fma_f32 v55, -0.5, v59, v55
	v_and_b32_e32 v59, 0xff, v61
	s_delay_alu instid0(VALU_DEP_2) | instskip(NEXT) | instid1(VALU_DEP_2)
	v_fmamk_f32 v73, v127, 0x3f5db3d7, v55
	v_lshlrev_b32_e32 v225, 3, v59
	ds_load_b64 v[75:76], v212 offset:10608
	ds_load_2addr_b64 v[59:62], v212 offset0:102 offset1:153
	ds_load_2addr_b64 v[63:66], v212 offset0:204 offset1:255
	;; [unrolled: 1-line block ×3, first 2 shown]
	global_wb scope:SCOPE_SE
	s_wait_storecnt_dscnt 0x0
	s_barrier_signal -1
	s_barrier_wait -1
	global_inv scope:SCOPE_SE
	ds_store_2addr_b64 v225, v[71:72], v[73:74] offset1:17
	v_add_f32_e32 v72, v81, v79
	v_fmac_f32_e32 v55, 0xbf5db3d7, v127
	v_add_f32_e32 v73, v82, v80
	v_sub_f32_e32 v74, v82, v80
	s_clause 0x1
	scratch_store_b32 off, v12, off offset:96
	scratch_store_b128 off, v[20:23], off offset:168
	ds_store_b64 v225, v[55:56] offset:272
	v_dual_add_f32 v55, v58, v81 :: v_dual_fmac_f32 v58, -0.5, v72
	v_sub_f32_e32 v71, v81, v79
	s_delay_alu instid0(VALU_DEP_2) | instskip(SKIP_3) | instid1(VALU_DEP_1)
	v_dual_add_f32 v56, v55, v79 :: v_dual_fmamk_f32 v29, v74, 0xbf5db3d7, v58
	v_fmac_f32_e32 v58, 0x3f5db3d7, v74
	v_add_f32_e32 v55, v57, v82
	v_fma_f32 v57, -0.5, v73, v57
	v_fmamk_f32 v28, v71, 0x3f5db3d7, v57
	s_delay_alu instid0(VALU_DEP_3) | instskip(SKIP_3) | instid1(VALU_DEP_2)
	v_add_f32_e32 v55, v55, v80
	ds_store_2addr_b64 v12, v[55:56], v[28:29] offset1:17
	v_add_f32_e32 v28, v60, v85
	v_dual_add_f32 v56, v85, v87 :: v_dual_add_f32 v55, v83, v86
	v_add_f32_e32 v29, v28, v87
	v_add_f32_e32 v28, v59, v83
	v_fmac_f32_e32 v57, 0xbf5db3d7, v71
	s_delay_alu instid0(VALU_DEP_4) | instskip(SKIP_1) | instid1(VALU_DEP_4)
	v_fma_f32 v55, -0.5, v55, v59
	v_fma_f32 v56, -0.5, v56, v60
	v_add_f32_e32 v28, v28, v86
	ds_store_b64 v12, v[57:58] offset:272
	v_dual_sub_f32 v57, v85, v87 :: v_dual_sub_f32 v58, v83, v86
	v_add_lshl_u32 v12, v30, v31, 3
	v_and_b32_e32 v85, 0xff, v52
	s_delay_alu instid0(VALU_DEP_3) | instskip(NEXT) | instid1(VALU_DEP_4)
	v_fmamk_f32 v30, v57, 0x3f5db3d7, v55
	v_fmamk_f32 v31, v58, 0xbf5db3d7, v56
	v_fmac_f32_e32 v55, 0xbf5db3d7, v57
	v_fmac_f32_e32 v56, 0x3f5db3d7, v58
	scratch_store_b32 off, v12, off offset:100 ; 4-byte Folded Spill
	v_dual_sub_f32 v57, v101, v103 :: v_dual_sub_f32 v58, v100, v102
	ds_store_b64 v12, v[55:56] offset:272
	v_sub_f32_e32 v55, v99, v91
	ds_store_2addr_b64 v12, v[28:29], v[30:31] offset1:17
	v_add_f32_e32 v30, v99, v91
	v_add_f32_e32 v28, v62, v99
	;; [unrolled: 1-line block ×3, first 2 shown]
	v_sub_f32_e32 v56, v98, v90
	s_delay_alu instid0(VALU_DEP_4) | instskip(NEXT) | instid1(VALU_DEP_4)
	v_fmac_f32_e32 v62, -0.5, v30
	v_dual_add_f32 v29, v28, v91 :: v_dual_and_b32 v30, 0xffff, v77
	v_add_f32_e32 v28, v61, v98
	v_fma_f32 v61, -0.5, v31, v61
	s_delay_alu instid0(VALU_DEP_4) | instskip(NEXT) | instid1(VALU_DEP_4)
	v_fmamk_f32 v31, v56, 0xbf5db3d7, v62
	v_mul_u32_u24_e32 v30, 51, v30
	s_delay_alu instid0(VALU_DEP_4) | instskip(NEXT) | instid1(VALU_DEP_2)
	v_add_f32_e32 v28, v28, v90
	v_add_lshl_u32 v12, v30, v78, 3
	v_fmamk_f32 v30, v55, 0x3f5db3d7, v61
	v_fmac_f32_e32 v61, 0xbf5db3d7, v55
	v_and_b32_e32 v55, 0xffff, v93
	scratch_store_b32 off, v12, off offset:120 ; 4-byte Folded Spill
	ds_store_2addr_b64 v12, v[28:29], v[30:31] offset1:17
	v_dual_add_f32 v31, v101, v103 :: v_dual_add_f32 v30, v100, v102
	v_mul_u32_u24_e32 v55, 51, v55
	s_delay_alu instid0(VALU_DEP_2) | instskip(SKIP_1) | instid1(VALU_DEP_4)
	v_fma_f32 v31, -0.5, v31, v64
	v_fmac_f32_e32 v62, 0x3f5db3d7, v56
	v_fma_f32 v30, -0.5, v30, v63
	v_add_f32_e32 v28, v64, v101
	s_delay_alu instid0(VALU_DEP_4)
	v_fmamk_f32 v56, v58, 0xbf5db3d7, v31
	v_fmac_f32_e32 v31, 0x3f5db3d7, v58
	ds_store_b64 v12, v[61:62] offset:272
	v_add_lshl_u32 v12, v55, v95, 3
	v_fmamk_f32 v55, v57, 0x3f5db3d7, v30
	v_dual_add_f32 v29, v28, v103 :: v_dual_add_f32 v28, v63, v100
	v_dual_fmac_f32 v30, 0xbf5db3d7, v57 :: v_dual_sub_f32 v57, v113, v106
	scratch_store_b32 off, v12, off offset:140 ; 4-byte Folded Spill
	v_sub_f32_e32 v58, v115, v117
	v_add_f32_e32 v28, v28, v102
	ds_store_b64 v12, v[30:31] offset:272
	v_add_f32_e32 v31, v114, v107
	v_mad_u16 v30, v92, 51, v94
	ds_store_2addr_b64 v12, v[28:29], v[55:56] offset1:17
	v_sub_f32_e32 v55, v114, v107
	v_add_f32_e32 v28, v66, v114
	v_add_f32_e32 v56, v113, v106
	v_fmac_f32_e32 v66, -0.5, v31
	v_and_b32_e32 v30, 0xffff, v30
	s_delay_alu instid0(VALU_DEP_2) | instskip(SKIP_4) | instid1(VALU_DEP_3)
	v_fmamk_f32 v31, v57, 0xbf5db3d7, v66
	v_dual_add_f32 v29, v28, v107 :: v_dual_add_f32 v28, v65, v113
	v_fma_f32 v65, -0.5, v56, v65
	v_dual_fmac_f32 v66, 0x3f5db3d7, v57 :: v_dual_sub_f32 v57, v116, v118
	v_lshlrev_b32_e32 v12, 3, v30
	v_fmamk_f32 v30, v55, 0x3f5db3d7, v65
	v_fmac_f32_e32 v65, 0xbf5db3d7, v55
	v_mad_u16 v55, v108, 51, v110
	v_add_f32_e32 v28, v28, v106
	scratch_store_b32 off, v12, off offset:144 ; 4-byte Folded Spill
	v_and_b32_e32 v55, 0xffff, v55
	ds_store_2addr_b64 v12, v[28:29], v[30:31] offset1:17
	v_dual_add_f32 v31, v116, v118 :: v_dual_add_f32 v30, v115, v117
	s_delay_alu instid0(VALU_DEP_1) | instskip(SKIP_1) | instid1(VALU_DEP_3)
	v_fma_f32 v31, -0.5, v31, v68
	v_add_f32_e32 v28, v68, v116
	v_fma_f32 v30, -0.5, v30, v67
	s_delay_alu instid0(VALU_DEP_3) | instskip(SKIP_1) | instid1(VALU_DEP_4)
	v_fmamk_f32 v56, v58, 0xbf5db3d7, v31
	v_fmac_f32_e32 v31, 0x3f5db3d7, v58
	v_add_f32_e32 v29, v28, v118
	ds_store_b64 v12, v[65:66] offset:272
	v_dual_fmamk_f32 v55, v57, 0x3f5db3d7, v30 :: v_dual_lshlrev_b32 v12, 3, v55
	v_dual_fmac_f32 v30, 0xbf5db3d7, v57 :: v_dual_sub_f32 v57, v123, v119
	v_add_f32_e32 v28, v67, v115
	ds_store_b64 v12, v[30:31] offset:272
	v_mad_u16 v30, v109, 51, v111
	v_add_f32_e32 v28, v28, v117
	s_delay_alu instid0(VALU_DEP_2) | instskip(SKIP_4) | instid1(VALU_DEP_3)
	v_dual_add_f32 v31, v124, v120 :: v_dual_and_b32 v30, 0xffff, v30
	ds_store_2addr_b64 v12, v[28:29], v[55:56] offset1:17
	v_add_f32_e32 v28, v70, v124
	v_dual_add_f32 v56, v123, v119 :: v_dual_sub_f32 v55, v124, v120
	v_fmac_f32_e32 v70, -0.5, v31
	v_dual_add_f32 v29, v28, v120 :: v_dual_lshlrev_b32 v72, 3, v30
	v_add_f32_e32 v28, v69, v123
	s_delay_alu instid0(VALU_DEP_4) | instskip(NEXT) | instid1(VALU_DEP_4)
	v_fma_f32 v69, -0.5, v56, v69
	v_fmamk_f32 v31, v57, 0xbf5db3d7, v70
	v_fmac_f32_e32 v70, 0x3f5db3d7, v57
	s_delay_alu instid0(VALU_DEP_4) | instskip(NEXT) | instid1(VALU_DEP_4)
	v_add_f32_e32 v28, v28, v119
	v_fmamk_f32 v30, v55, 0x3f5db3d7, v69
	v_fmac_f32_e32 v69, 0xbf5db3d7, v55
	ds_store_2addr_b64 v72, v[28:29], v[30:31] offset1:17
	v_dual_mul_f32 v28, v76, v23 :: v_dual_add_f32 v29, v54, v126
	v_mad_u16 v31, v121, 51, v122
	s_delay_alu instid0(VALU_DEP_2) | instskip(NEXT) | instid1(VALU_DEP_1)
	v_fma_f32 v30, v75, v22, -v28
	v_dual_mul_f32 v28, v75, v23 :: v_dual_add_f32 v57, v125, v30
	s_delay_alu instid0(VALU_DEP_1) | instskip(NEXT) | instid1(VALU_DEP_1)
	v_fmac_f32_e32 v28, v76, v22
	v_dual_sub_f32 v58, v125, v30 :: v_dual_sub_f32 v55, v126, v28
	v_add_f32_e32 v56, v126, v28
	v_add_f32_e32 v29, v29, v28
	;; [unrolled: 1-line block ×3, first 2 shown]
	v_fma_f32 v53, -0.5, v57, v53
	scratch_store_b32 off, v12, off offset:148 ; 4-byte Folded Spill
	v_fmac_f32_e32 v54, -0.5, v56
	v_add_f32_e32 v28, v28, v30
	v_and_b32_e32 v30, 0xffff, v31
	s_delay_alu instid0(VALU_DEP_3) | instskip(SKIP_1) | instid1(VALU_DEP_3)
	v_fmamk_f32 v31, v58, 0xbf5db3d7, v54
	v_fmac_f32_e32 v54, 0x3f5db3d7, v58
	v_dual_fmamk_f32 v30, v55, 0x3f5db3d7, v53 :: v_dual_lshlrev_b32 v73, 3, v30
	v_fmac_f32_e32 v53, 0xbf5db3d7, v55
	ds_store_b64 v72, v[69:70] offset:272
	ds_store_2addr_b64 v73, v[28:29], v[30:31] offset1:17
	ds_store_b64 v73, v[53:54] offset:272
	v_lshlrev_b32_e32 v53, 6, v197
	global_wb scope:SCOPE_SE
	s_wait_storecnt_dscnt 0x0
	s_barrier_signal -1
	s_barrier_wait -1
	global_inv scope:SCOPE_SE
	s_clause 0x1
	global_load_b128 v[28:31], v53, s[0:1] offset:272
	global_load_b128 v[56:59], v53, s[0:1] offset:288
	ds_load_2addr_b64 v[60:63], v142 offset0:50 offset1:101
	s_wait_loadcnt_dscnt 0x100
	v_mul_f32_e32 v54, v61, v31
	v_mul_f32_e32 v133, v60, v31
	;; [unrolled: 1-line block ×3, first 2 shown]
	s_delay_alu instid0(VALU_DEP_3) | instskip(NEXT) | instid1(VALU_DEP_3)
	v_fma_f32 v128, v60, v30, -v54
	v_dual_mul_f32 v54, v63, v31 :: v_dual_fmac_f32 v133, v61, v30
	s_delay_alu instid0(VALU_DEP_3) | instskip(NEXT) | instid1(VALU_DEP_2)
	v_fmac_f32_e32 v100, v63, v30
	v_fma_f32 v99, v62, v30, -v54
	ds_load_2addr_b64 v[60:63], v141 offset0:100 offset1:151
	s_wait_loadcnt_dscnt 0x0
	v_mul_f32_e32 v54, v61, v59
	v_mul_f32_e32 v114, v60, v59
	;; [unrolled: 1-line block ×3, first 2 shown]
	s_delay_alu instid0(VALU_DEP_3) | instskip(SKIP_1) | instid1(VALU_DEP_4)
	v_fma_f32 v113, v60, v58, -v54
	v_mul_f32_e32 v54, v63, v59
	v_fmac_f32_e32 v114, v61, v58
	s_delay_alu instid0(VALU_DEP_4) | instskip(NEXT) | instid1(VALU_DEP_3)
	v_dual_fmac_f32 v101, v63, v58 :: v_dual_lshlrev_b32 v82, 6, v85
	v_fma_f32 v102, v62, v58, -v54
	s_clause 0x1
	global_load_b128 v[60:63], v53, s[0:1] offset:304
	global_load_b128 v[64:67], v53, s[0:1] offset:320
	ds_load_2addr_b64 v[68:71], v139 offset0:150 offset1:201
	s_wait_loadcnt_dscnt 0x100
	v_mul_f32_e32 v53, v69, v63
	v_mul_f32_e32 v137, v68, v63
	;; [unrolled: 1-line block ×3, first 2 shown]
	s_delay_alu instid0(VALU_DEP_3) | instskip(SKIP_1) | instid1(VALU_DEP_4)
	v_fma_f32 v134, v68, v62, -v53
	v_mul_f32_e32 v53, v71, v63
	v_fmac_f32_e32 v137, v69, v62
	s_delay_alu instid0(VALU_DEP_4) | instskip(NEXT) | instid1(VALU_DEP_3)
	v_fmac_f32_e32 v109, v71, v62
	v_fma_f32 v108, v70, v62, -v53
	ds_load_2addr_b64 v[68:71], v154 offset0:200 offset1:251
	s_wait_loadcnt_dscnt 0x0
	v_mul_f32_e32 v53, v69, v67
	v_mul_f32_e32 v130, v68, v67
	;; [unrolled: 1-line block ×3, first 2 shown]
	s_delay_alu instid0(VALU_DEP_3) | instskip(NEXT) | instid1(VALU_DEP_3)
	v_fma_f32 v129, v68, v66, -v53
	v_dual_mul_f32 v53, v71, v67 :: v_dual_fmac_f32 v130, v69, v66
	s_delay_alu instid0(VALU_DEP_3) | instskip(NEXT) | instid1(VALU_DEP_2)
	v_fmac_f32_e32 v116, v71, v66
	v_fma_f32 v115, v70, v66, -v53
	ds_load_2addr_b64 v[52:55], v212 offset0:204 offset1:255
	s_wait_dscnt 0x0
	v_mul_f32_e32 v68, v53, v29
	v_mul_f32_e32 v118, v52, v29
	s_delay_alu instid0(VALU_DEP_2)
	v_fma_f32 v117, v52, v28, -v68
	s_clause 0x1
	global_load_b128 v[68:71], v82, s[0:1] offset:272
	global_load_b128 v[12:15], v82, s[0:1] offset:288
	v_fmac_f32_e32 v118, v53, v28
	ds_load_2addr_b64 v[78:81], v139 offset0:48 offset1:99
	s_wait_dscnt 0x0
	v_mul_f32_e32 v121, v78, v61
	s_delay_alu instid0(VALU_DEP_1)
	v_fmac_f32_e32 v121, v79, v60
	s_wait_loadcnt 0x1
	v_mul_f32_e32 v52, v55, v69
	v_mul_f32_e32 v90, v54, v69
	s_wait_loadcnt 0x0
	scratch_store_b128 off, v[12:15], off offset:200 ; 16-byte Folded Spill
	v_fma_f32 v91, v54, v68, -v52
	v_fmac_f32_e32 v90, v55, v68
	ds_load_2addr_b64 v[52:55], v142 offset0:152 offset1:203
	s_wait_dscnt 0x0
	v_mul_f32_e32 v76, v55, v57
	v_dual_mul_f32 v143, v54, v57 :: v_dual_mul_f32 v92, v52, v71
	s_delay_alu instid0(VALU_DEP_2) | instskip(NEXT) | instid1(VALU_DEP_2)
	v_fma_f32 v138, v54, v56, -v76
	v_dual_mul_f32 v54, v53, v71 :: v_dual_fmac_f32 v143, v55, v56
	s_delay_alu instid0(VALU_DEP_3) | instskip(NEXT) | instid1(VALU_DEP_2)
	v_fmac_f32_e32 v92, v53, v70
	v_fma_f32 v93, v52, v70, -v54
	ds_load_2addr_b64 v[52:55], v140 offset0:126 offset1:177
	s_wait_dscnt 0x0
	v_mul_f32_e32 v76, v53, v57
	v_mul_f32_e32 v120, v52, v57
	v_mul_f32_e32 v94, v54, v13
	s_delay_alu instid0(VALU_DEP_3) | instskip(SKIP_1) | instid1(VALU_DEP_4)
	v_fma_f32 v119, v52, v56, -v76
	v_mul_f32_e32 v52, v55, v13
	v_fmac_f32_e32 v120, v53, v56
	s_delay_alu instid0(VALU_DEP_4) | instskip(NEXT) | instid1(VALU_DEP_3)
	v_fmac_f32_e32 v94, v55, v12
	v_fma_f32 v95, v54, v12, -v52
	ds_load_2addr_b64 v[52:55], v141 offset0:202 offset1:253
	s_wait_dscnt 0x0
	v_mul_f32_e32 v76, v55, v61
	v_mul_f32_e32 v124, v54, v61
	;; [unrolled: 1-line block ×3, first 2 shown]
	s_delay_alu instid0(VALU_DEP_3) | instskip(SKIP_1) | instid1(VALU_DEP_3)
	v_fma_f32 v123, v54, v60, -v76
	v_mul_f32_e32 v54, v53, v15
	v_fmac_f32_e32 v98, v53, v14
	s_delay_alu instid0(VALU_DEP_3) | instskip(NEXT) | instid1(VALU_DEP_3)
	v_add_f32_e32 v158, v113, v123
	v_fma_f32 v86, v52, v14, -v54
	s_clause 0x1
	global_load_b128 v[74:77], v82, s[0:1] offset:304
	global_load_b128 v[12:15], v82, s[0:1] offset:320
	ds_load_b64 v[151:152], v212 offset:10608
	s_wait_loadcnt 0x1
	v_mul_f32_e32 v82, v81, v75
	v_mul_f32_e32 v103, v80, v75
	s_delay_alu instid0(VALU_DEP_2) | instskip(NEXT) | instid1(VALU_DEP_2)
	v_fma_f32 v87, v80, v74, -v82
	v_fmac_f32_e32 v103, v81, v74
	ds_load_2addr_b64 v[80:83], v153 offset0:124 offset1:175
	s_wait_dscnt 0x0
	v_mul_f32_e32 v106, v83, v65
	v_mul_f32_e32 v136, v82, v65
	s_delay_alu instid0(VALU_DEP_2) | instskip(SKIP_2) | instid1(VALU_DEP_4)
	v_fma_f32 v135, v82, v64, -v106
	v_mul_f32_e32 v82, v81, v77
	v_mul_f32_e32 v106, v80, v77
	v_fmac_f32_e32 v136, v83, v64
	s_delay_alu instid0(VALU_DEP_3) | instskip(NEXT) | instid1(VALU_DEP_3)
	v_fma_f32 v107, v80, v76, -v82
	v_fmac_f32_e32 v106, v81, v76
	ds_load_2addr_b64 v[80:83], v154 offset0:98 offset1:149
	s_wait_dscnt 0x0
	v_mul_f32_e32 v110, v81, v65
	v_mul_f32_e32 v126, v80, v65
	s_delay_alu instid0(VALU_DEP_2) | instskip(SKIP_4) | instid1(VALU_DEP_3)
	v_fma_f32 v125, v80, v64, -v110
	s_wait_loadcnt 0x0
	v_mul_f32_e32 v80, v83, v13
	v_mul_f32_e32 v110, v82, v13
	v_fmac_f32_e32 v126, v81, v64
	v_fma_f32 v111, v82, v12, -v80
	s_delay_alu instid0(VALU_DEP_3) | instskip(SKIP_3) | instid1(VALU_DEP_1)
	v_fmac_f32_e32 v110, v83, v12
	ds_load_2addr_b64 v[80:83], v212 offset0:102 offset1:153
	s_wait_dscnt 0x0
	v_mul_f32_e32 v127, v83, v29
	v_fma_f32 v131, v82, v28, -v127
	s_delay_alu instid0(VALU_DEP_1) | instskip(SKIP_2) | instid1(VALU_DEP_1)
	v_add_f32_e32 v127, v131, v129
	v_sub_f32_e32 v131, v131, v129
	v_mul_f32_e32 v129, v82, v29
	v_fmac_f32_e32 v129, v83, v28
	v_add_f32_e32 v83, v138, v134
	s_delay_alu instid0(VALU_DEP_2)
	v_add_f32_e32 v82, v129, v130
	v_dual_sub_f32 v132, v129, v130 :: v_dual_add_f32 v129, v128, v135
	v_dual_sub_f32 v135, v128, v135 :: v_dual_add_f32 v130, v133, v136
	v_dual_sub_f32 v136, v133, v136 :: v_dual_sub_f32 v133, v138, v134
	v_add_f32_e32 v128, v143, v137
	v_dual_sub_f32 v134, v143, v137 :: v_dual_sub_f32 v137, v113, v123
	s_delay_alu instid0(VALU_DEP_1) | instskip(SKIP_2) | instid1(VALU_DEP_3)
	v_mul_f32_e32 v161, 0xbf248dbb, v137
	v_mul_f32_e32 v138, 0x3f7c1c5c, v137
	v_add_f32_e32 v156, v137, v131
	v_dual_fmac_f32 v161, 0x3f7c1c5c, v131 :: v_dual_fmac_f32 v124, v55, v60
	s_delay_alu instid0(VALU_DEP_3) | instskip(NEXT) | instid1(VALU_DEP_2)
	v_fma_f32 v138, 0xbf248dbb, v135, -v138
	v_fmac_f32_e32 v161, 0xbf5db3d7, v133
	s_delay_alu instid0(VALU_DEP_2) | instskip(SKIP_1) | instid1(VALU_DEP_3)
	v_dual_sub_f32 v157, v114, v124 :: v_dual_fmac_f32 v138, 0x3f5db3d7, v133
	v_dual_add_f32 v159, v114, v124 :: v_dual_mul_f32 v52, v79, v61
	v_fmac_f32_e32 v161, 0x3eaf1d44, v135
	s_delay_alu instid0(VALU_DEP_3) | instskip(SKIP_3) | instid1(VALU_DEP_4)
	v_mul_f32_e32 v143, 0x3f7c1c5c, v157
	v_mul_f32_e32 v162, 0xbf248dbb, v157
	v_lshlrev_b32_e32 v79, 3, v85
	v_fma_f32 v122, v78, v60, -v52
	v_fma_f32 v149, 0xbf248dbb, v136, -v143
	ds_load_2addr_b64 v[143:146], v212 offset1:51
	global_wb scope:SCOPE_SE
	s_wait_storecnt_dscnt 0x0
	s_barrier_signal -1
	s_barrier_wait -1
	v_fmac_f32_e32 v149, 0x3f5db3d7, v134
	global_inv scope:SCOPE_SE
	scratch_store_b128 off, v[12:15], off offset:184 ; 16-byte Folded Spill
	v_fmac_f32_e32 v149, 0x3eaf1d44, v132
	v_fmamk_f32 v147, v129, 0x3f441b7d, v143
	s_delay_alu instid0(VALU_DEP_1) | instskip(SKIP_2) | instid1(VALU_DEP_3)
	v_fmac_f32_e32 v147, 0x3e31d0d4, v158
	v_fmac_f32_e32 v138, 0x3eaf1d44, v131
	v_mul_f32_e32 v131, 0x3f248dbb, v131
	v_fmac_f32_e32 v147, -0.5, v83
	s_delay_alu instid0(VALU_DEP_2) | instskip(NEXT) | instid1(VALU_DEP_2)
	v_fmac_f32_e32 v131, 0x3f7c1c5c, v135
	v_fmac_f32_e32 v147, 0xbf708fb2, v127
	s_delay_alu instid0(VALU_DEP_2) | instskip(NEXT) | instid1(VALU_DEP_2)
	v_fmac_f32_e32 v131, 0x3f5db3d7, v133
	v_add_f32_e32 v147, v149, v147
	s_delay_alu instid0(VALU_DEP_2) | instskip(SKIP_1) | instid1(VALU_DEP_3)
	v_fmac_f32_e32 v131, 0x3eaf1d44, v137
	v_fmamk_f32 v148, v130, 0x3f441b7d, v144
	v_fma_f32 v149, -2.0, v149, v147
	s_delay_alu instid0(VALU_DEP_2) | instskip(NEXT) | instid1(VALU_DEP_1)
	v_fmac_f32_e32 v148, 0x3e31d0d4, v159
	v_fmac_f32_e32 v148, -0.5, v128
	s_delay_alu instid0(VALU_DEP_1) | instskip(NEXT) | instid1(VALU_DEP_1)
	v_fmac_f32_e32 v148, 0xbf708fb2, v82
	v_sub_f32_e32 v148, v148, v138
	s_delay_alu instid0(VALU_DEP_1) | instskip(SKIP_4) | instid1(VALU_DEP_2)
	v_fma_f32 v150, 2.0, v138, v148
	v_add_f32_e32 v138, v129, v127
	ds_store_2addr_b64 v212, v[147:148], v[149:150] offset0:204 offset1:255
	v_dual_add_f32 v148, v158, v138 :: v_dual_add_f32 v147, v83, v143
	v_add_f32_e32 v160, v130, v82
	v_dual_fmamk_f32 v150, v159, 0x3f441b7d, v144 :: v_dual_fmac_f32 v147, -0.5, v148
	v_add_f32_e32 v148, v128, v144
	s_delay_alu instid0(VALU_DEP_3) | instskip(NEXT) | instid1(VALU_DEP_1)
	v_add_f32_e32 v149, v159, v160
	v_dual_fmac_f32 v148, -0.5, v149 :: v_dual_fmamk_f32 v149, v158, 0x3f441b7d, v143
	s_delay_alu instid0(VALU_DEP_1) | instskip(SKIP_1) | instid1(VALU_DEP_2)
	v_fmac_f32_e32 v149, 0x3e31d0d4, v127
	v_fmamk_f32 v127, v127, 0x3f441b7d, v143
	v_fmac_f32_e32 v149, -0.5, v83
	s_delay_alu instid0(VALU_DEP_2) | instskip(NEXT) | instid1(VALU_DEP_2)
	v_fmac_f32_e32 v127, 0x3e31d0d4, v129
	v_fmac_f32_e32 v149, 0xbf708fb2, v129
	v_fmamk_f32 v129, v82, 0x3f441b7d, v144
	s_delay_alu instid0(VALU_DEP_3) | instskip(NEXT) | instid1(VALU_DEP_2)
	v_fmac_f32_e32 v127, -0.5, v83
	v_fmac_f32_e32 v129, 0x3e31d0d4, v130
	s_delay_alu instid0(VALU_DEP_2) | instskip(NEXT) | instid1(VALU_DEP_2)
	v_fmac_f32_e32 v127, 0xbf708fb2, v158
	v_dual_fmac_f32 v129, -0.5, v128 :: v_dual_fmac_f32 v150, 0x3e31d0d4, v82
	s_delay_alu instid0(VALU_DEP_1) | instskip(NEXT) | instid1(VALU_DEP_1)
	v_dual_add_f32 v82, v83, v138 :: v_dual_fmac_f32 v129, 0xbf708fb2, v159
	v_dual_add_f32 v83, v128, v160 :: v_dual_add_f32 v82, v113, v82
	s_delay_alu instid0(VALU_DEP_1) | instskip(SKIP_2) | instid1(VALU_DEP_4)
	v_dual_fmac_f32 v150, -0.5, v128 :: v_dual_add_f32 v83, v114, v83
	v_fmac_f32_e32 v162, 0x3f7c1c5c, v132
	v_add_f32_e32 v155, v157, v132
	v_dual_mul_f32 v132, 0x3f248dbb, v132 :: v_dual_add_f32 v113, v123, v82
	s_delay_alu instid0(VALU_DEP_4) | instskip(SKIP_1) | instid1(VALU_DEP_3)
	v_add_f32_e32 v114, v124, v83
	v_sub_f32_e32 v83, v129, v131
	v_dual_add_f32 v123, v117, v115 :: v_dual_fmac_f32 v132, 0x3f7c1c5c, v136
	s_delay_alu instid0(VALU_DEP_3) | instskip(SKIP_1) | instid1(VALU_DEP_3)
	v_dual_add_f32 v113, v113, v143 :: v_dual_add_f32 v114, v114, v144
	v_dual_add_f32 v124, v99, v125 :: v_dual_add_f32 v129, v118, v116
	v_dual_fmac_f32 v132, 0x3f5db3d7, v134 :: v_dual_sub_f32 v155, v155, v136
	s_delay_alu instid0(VALU_DEP_2) | instskip(NEXT) | instid1(VALU_DEP_2)
	v_add_f32_e32 v128, v124, v123
	v_fmac_f32_e32 v132, 0x3eaf1d44, v157
	s_delay_alu instid0(VALU_DEP_3) | instskip(SKIP_1) | instid1(VALU_DEP_3)
	v_fmac_f32_e32 v147, 0x3f5db3d7, v155
	v_mul_f32_e32 v155, 0x3f5db3d7, v155
	v_dual_add_f32 v82, v132, v127 :: v_dual_add_f32 v127, v119, v108
	v_dual_sub_f32 v108, v119, v108 :: v_dual_sub_f32 v119, v101, v121
	s_delay_alu instid0(VALU_DEP_3)
	v_fma_f32 v155, -2.0, v155, v147
	ds_store_2addr_b64 v212, v[113:114], v[82:83] offset1:51
	v_fma_f32 v83, 2.0, v131, v83
	v_add_f32_e32 v131, v120, v109
	v_sub_f32_e32 v109, v120, v109
	v_add_f32_e32 v120, v101, v121
	v_fmac_f32_e32 v150, 0xbf708fb2, v130
	v_add_f32_e32 v130, v100, v126
	v_fma_f32 v82, -2.0, v132, v82
	s_delay_alu instid0(VALU_DEP_2) | instskip(NEXT) | instid1(VALU_DEP_1)
	v_dual_add_f32 v113, v127, v128 :: v_dual_add_f32 v132, v130, v129
	v_dual_add_f32 v113, v102, v113 :: v_dual_add_f32 v114, v131, v132
	s_delay_alu instid0(VALU_DEP_1) | instskip(NEXT) | instid1(VALU_DEP_1)
	v_dual_add_f32 v113, v122, v113 :: v_dual_add_f32 v114, v101, v114
	v_add_f32_e32 v113, v113, v145
	s_delay_alu instid0(VALU_DEP_2) | instskip(NEXT) | instid1(VALU_DEP_1)
	v_add_f32_e32 v114, v121, v114
	v_add_f32_e32 v114, v114, v146
	ds_store_2addr_b64 v142, v[82:83], v[113:114] offset0:152 offset1:203
	v_sub_f32_e32 v113, v117, v115
	v_fmamk_f32 v83, v129, 0x3f441b7d, v146
	v_dual_sub_f32 v115, v99, v125 :: v_dual_sub_f32 v114, v118, v116
	v_sub_f32_e32 v117, v102, v122
	v_add_f32_e32 v118, v102, v122
	v_mul_f32_e32 v102, 0x3f248dbb, v113
	v_fmac_f32_e32 v83, 0x3e31d0d4, v130
	v_sub_f32_e32 v116, v100, v126
	v_mul_f32_e32 v101, 0x3f248dbb, v114
	v_fmamk_f32 v82, v123, 0x3f441b7d, v145
	v_fmac_f32_e32 v102, 0x3f7c1c5c, v115
	v_fmac_f32_e32 v83, -0.5, v131
	v_dual_mul_f32 v121, 0xbf248dbb, v117 :: v_dual_mul_f32 v122, 0xbf248dbb, v119
	v_dual_fmamk_f32 v99, v118, 0x3f441b7d, v145 :: v_dual_fmamk_f32 v100, v120, 0x3f441b7d, v146
	v_dual_fmac_f32 v101, 0x3f7c1c5c, v116 :: v_dual_sub_f32 v156, v156, v135
	v_fmac_f32_e32 v82, 0x3e31d0d4, v124
	v_fmac_f32_e32 v102, 0x3f5db3d7, v108
	v_dual_fmac_f32 v83, 0xbf708fb2, v120 :: v_dual_sub_f32 v150, v150, v161
	v_dual_fmac_f32 v121, 0x3f7c1c5c, v113 :: v_dual_fmac_f32 v122, 0x3f7c1c5c, v114
	v_dual_fmac_f32 v99, 0x3e31d0d4, v123 :: v_dual_fmac_f32 v100, 0x3e31d0d4, v129
	s_delay_alu instid0(VALU_DEP_2)
	v_dual_fmac_f32 v162, 0xbf5db3d7, v134 :: v_dual_fmac_f32 v121, 0xbf5db3d7, v108
	v_dual_fmac_f32 v101, 0x3f5db3d7, v109 :: v_dual_fmac_f32 v82, -0.5, v127
	v_fmac_f32_e32 v102, 0x3eaf1d44, v117
	v_fmac_f32_e32 v148, 0xbf5db3d7, v156
	v_dual_mul_f32 v156, 0x3f5db3d7, v156 :: v_dual_fmac_f32 v99, -0.5, v127
	v_fmac_f32_e32 v122, 0xbf5db3d7, v109
	v_fmac_f32_e32 v100, -0.5, v131
	v_dual_fmac_f32 v162, 0x3eaf1d44, v136 :: v_dual_fmac_f32 v101, 0x3eaf1d44, v119
	v_fmac_f32_e32 v82, 0xbf708fb2, v118
	s_delay_alu instid0(VALU_DEP_4) | instskip(NEXT) | instid1(VALU_DEP_4)
	v_dual_fmac_f32 v121, 0x3eaf1d44, v115 :: v_dual_fmac_f32 v122, 0x3eaf1d44, v116
	v_dual_fmac_f32 v99, 0xbf708fb2, v124 :: v_dual_fmac_f32 v100, 0xbf708fb2, v130
	s_delay_alu instid0(VALU_DEP_3) | instskip(SKIP_2) | instid1(VALU_DEP_4)
	v_add_f32_e32 v82, v101, v82
	v_sub_f32_e32 v83, v83, v102
	v_add_f32_e32 v149, v162, v149
	v_dual_add_f32 v99, v122, v99 :: v_dual_sub_f32 v100, v100, v121
	s_delay_alu instid0(VALU_DEP_4) | instskip(NEXT) | instid1(VALU_DEP_4)
	v_fma_f32 v101, -2.0, v101, v82
	v_fma_f32 v102, 2.0, v102, v83
	v_fma_f32 v156, 2.0, v156, v148
	ds_store_2addr_b64 v212, v[149:150], v[147:148] offset0:102 offset1:153
	ds_store_2addr_b64 v140, v[82:83], v[99:100] offset0:126 offset1:177
	v_fma_f32 v82, -2.0, v122, v99
	v_fma_f32 v83, 2.0, v121, v100
	v_fmamk_f32 v99, v124, 0x3f441b7d, v145
	v_fma_f32 v147, -2.0, v162, v149
	v_fma_f32 v148, 2.0, v161, v150
	ds_store_2addr_b64 v139, v[82:83], v[101:102] offset0:48 offset1:99
	v_dual_mul_f32 v82, 0x3f7c1c5c, v117 :: v_dual_add_f32 v83, v131, v146
	v_add_f32_e32 v101, v117, v113
	v_fmac_f32_e32 v99, 0x3e31d0d4, v118
	ds_store_2addr_b64 v142, v[155:156], v[147:148] offset0:50 offset1:101
	v_fma_f32 v121, 0xbf248dbb, v115, -v82
	v_dual_add_f32 v82, v127, v145 :: v_dual_sub_f32 v101, v101, v115
	v_fmac_f32_e32 v99, -0.5, v127
	v_sub_f32_e32 v115, v98, v103
	s_delay_alu instid0(VALU_DEP_4) | instskip(NEXT) | instid1(VALU_DEP_3)
	v_fmac_f32_e32 v121, 0x3f5db3d7, v108
	v_fmac_f32_e32 v99, 0xbf708fb2, v123
	s_delay_alu instid0(VALU_DEP_2) | instskip(SKIP_1) | instid1(VALU_DEP_1)
	v_fmac_f32_e32 v121, 0x3eaf1d44, v113
	v_add_f32_e32 v113, v120, v132
	v_fmac_f32_e32 v83, -0.5, v113
	v_dual_add_f32 v113, v94, v106 :: v_dual_mul_f32 v108, 0x3f7c1c5c, v119
	s_delay_alu instid0(VALU_DEP_2) | instskip(NEXT) | instid1(VALU_DEP_2)
	v_dual_sub_f32 v106, v94, v106 :: v_dual_fmac_f32 v83, 0xbf5db3d7, v101
	v_fma_f32 v108, 0xbf248dbb, v116, -v108
	s_delay_alu instid0(VALU_DEP_1) | instskip(NEXT) | instid1(VALU_DEP_1)
	v_dual_fmac_f32 v108, 0x3f5db3d7, v109 :: v_dual_add_f32 v109, v119, v114
	v_dual_fmac_f32 v108, 0x3eaf1d44, v114 :: v_dual_sub_f32 v109, v109, v116
	s_delay_alu instid0(VALU_DEP_1) | instskip(NEXT) | instid1(VALU_DEP_1)
	v_dual_add_f32 v99, v108, v99 :: v_dual_add_f32 v102, v118, v128
	v_fmac_f32_e32 v82, -0.5, v102
	s_delay_alu instid0(VALU_DEP_3) | instskip(NEXT) | instid1(VALU_DEP_2)
	v_mul_f32_e32 v102, 0x3f5db3d7, v109
	v_fmac_f32_e32 v82, 0x3f5db3d7, v109
	v_mul_f32_e32 v109, 0x3f5db3d7, v101
	s_delay_alu instid0(VALU_DEP_2) | instskip(NEXT) | instid1(VALU_DEP_2)
	v_fma_f32 v101, -2.0, v102, v82
	v_fma_f32 v102, 2.0, v109, v83
	v_add_f32_e32 v109, v92, v110
	v_fmac_f32_e32 v146, 0x3f441b7d, v130
	v_sub_f32_e32 v110, v92, v110
	v_add_f32_e32 v118, v86, v87
	s_delay_alu instid0(VALU_DEP_3) | instskip(NEXT) | instid1(VALU_DEP_1)
	v_fmac_f32_e32 v146, 0x3e31d0d4, v120
	v_fmac_f32_e32 v146, -0.5, v131
	s_delay_alu instid0(VALU_DEP_1) | instskip(NEXT) | instid1(VALU_DEP_1)
	v_fmac_f32_e32 v146, 0xbf708fb2, v129
	v_sub_f32_e32 v100, v146, v121
	ds_store_2addr_b64 v141, v[82:83], v[99:100] offset0:100 offset1:151
	v_fma_f32 v82, -2.0, v108, v99
	v_fma_f32 v83, 2.0, v121, v100
	v_sub_f32_e32 v108, v93, v111
	ds_store_2addr_b64 v141, v[82:83], v[101:102] offset0:202 offset1:253
	v_mul_f32_e32 v83, v151, v15
	v_mul_f32_e32 v82, v152, v15
	s_delay_alu instid0(VALU_DEP_2) | instskip(NEXT) | instid1(VALU_DEP_2)
	v_fmac_f32_e32 v83, v152, v14
	v_fma_f32 v82, v151, v14, -v82
	s_delay_alu instid0(VALU_DEP_2) | instskip(NEXT) | instid1(VALU_DEP_2)
	v_add_f32_e32 v101, v90, v83
	v_add_f32_e32 v99, v91, v82
	v_dual_sub_f32 v100, v91, v82 :: v_dual_mul_f32 v91, 0x3f7c1c5c, v115
	s_delay_alu instid0(VALU_DEP_3) | instskip(SKIP_1) | instid1(VALU_DEP_3)
	v_dual_sub_f32 v83, v90, v83 :: v_dual_add_f32 v114, v109, v101
	v_fmamk_f32 v116, v101, 0x3f441b7d, v81
	v_fma_f32 v94, 0xbf248dbb, v110, -v91
	v_add_f32_e32 v91, v113, v81
	v_add_f32_e32 v102, v93, v111
	v_dual_add_f32 v111, v95, v107 :: v_dual_add_f32 v82, v113, v114
	s_delay_alu instid0(VALU_DEP_4) | instskip(NEXT) | instid1(VALU_DEP_3)
	v_dual_sub_f32 v107, v95, v107 :: v_dual_fmac_f32 v94, 0x3f5db3d7, v106
	v_fmamk_f32 v92, v102, 0x3f441b7d, v80
	s_delay_alu instid0(VALU_DEP_3) | instskip(SKIP_1) | instid1(VALU_DEP_4)
	v_add_f32_e32 v82, v98, v82
	v_add_f32_e32 v98, v98, v103
	v_fmac_f32_e32 v94, 0x3eaf1d44, v83
	s_delay_alu instid0(VALU_DEP_4) | instskip(NEXT) | instid1(VALU_DEP_4)
	v_fmac_f32_e32 v92, 0x3e31d0d4, v118
	v_dual_add_f32 v82, v103, v82 :: v_dual_sub_f32 v103, v86, v87
	s_delay_alu instid0(VALU_DEP_2) | instskip(NEXT) | instid1(VALU_DEP_2)
	v_dual_fmamk_f32 v117, v98, 0x3f441b7d, v81 :: v_dual_fmac_f32 v92, -0.5, v111
	v_add_f32_e32 v82, v82, v81
	s_delay_alu instid0(VALU_DEP_3) | instskip(SKIP_1) | instid1(VALU_DEP_4)
	v_mul_f32_e32 v90, 0x3f7c1c5c, v103
	v_fmac_f32_e32 v81, 0x3f441b7d, v109
	v_fmac_f32_e32 v92, 0xbf708fb2, v99
	;; [unrolled: 1-line block ×3, first 2 shown]
	v_mul_f32_e32 v85, 0xbf248dbb, v103
	v_fma_f32 v90, 0xbf248dbb, v108, -v90
	s_delay_alu instid0(VALU_DEP_4) | instskip(NEXT) | instid1(VALU_DEP_2)
	v_dual_fmac_f32 v81, 0x3e31d0d4, v98 :: v_dual_add_f32 v92, v94, v92
	v_dual_fmac_f32 v117, -0.5, v113 :: v_dual_fmac_f32 v90, 0x3f5db3d7, v107
	s_delay_alu instid0(VALU_DEP_2) | instskip(NEXT) | instid1(VALU_DEP_3)
	v_fmac_f32_e32 v81, -0.5, v113
	v_fma_f32 v94, -2.0, v94, v92
	s_delay_alu instid0(VALU_DEP_3) | instskip(NEXT) | instid1(VALU_DEP_4)
	v_fmac_f32_e32 v117, 0xbf708fb2, v109
	v_fmac_f32_e32 v90, 0x3eaf1d44, v100
	s_delay_alu instid0(VALU_DEP_4) | instskip(SKIP_1) | instid1(VALU_DEP_2)
	v_fmac_f32_e32 v81, 0xbf708fb2, v101
	v_add_f32_e32 v101, v102, v99
	v_sub_f32_e32 v93, v81, v90
	v_add_nc_u32_e32 v81, 0x2000, v79
	s_delay_alu instid0(VALU_DEP_2)
	v_fma_f32 v95, 2.0, v90, v93
	v_fmamk_f32 v90, v118, 0x3f441b7d, v80
	ds_store_2addr_b64 v81, v[92:93], v[94:95] offset0:98 offset1:149
	v_dual_mul_f32 v94, 0xbf248dbb, v115 :: v_dual_add_f32 v95, v118, v101
	v_fmac_f32_e32 v85, 0x3f7c1c5c, v100
	v_fmac_f32_e32 v90, 0x3e31d0d4, v99
	s_delay_alu instid0(VALU_DEP_3) | instskip(NEXT) | instid1(VALU_DEP_3)
	v_fmac_f32_e32 v94, 0x3f7c1c5c, v83
	v_fmac_f32_e32 v85, 0xbf5db3d7, v107
	s_delay_alu instid0(VALU_DEP_3) | instskip(NEXT) | instid1(VALU_DEP_3)
	v_fmac_f32_e32 v90, -0.5, v111
	v_fmac_f32_e32 v94, 0xbf5db3d7, v106
	s_delay_alu instid0(VALU_DEP_3) | instskip(NEXT) | instid1(VALU_DEP_1)
	v_fmac_f32_e32 v85, 0x3eaf1d44, v108
	v_dual_fmac_f32 v90, 0xbf708fb2, v102 :: v_dual_sub_f32 v93, v117, v85
	v_add_nc_u32_e32 v117, 0x1c00, v79
	s_delay_alu instid0(VALU_DEP_4) | instskip(NEXT) | instid1(VALU_DEP_1)
	v_fmac_f32_e32 v94, 0x3eaf1d44, v110
	v_add_f32_e32 v92, v94, v90
	v_add_f32_e32 v90, v111, v80
	s_delay_alu instid0(VALU_DEP_2) | instskip(NEXT) | instid1(VALU_DEP_2)
	v_fma_f32 v94, -2.0, v94, v92
	v_fmac_f32_e32 v90, -0.5, v95
	v_fma_f32 v95, 2.0, v85, v93
	v_dual_add_f32 v85, v98, v114 :: v_dual_add_f32 v114, v103, v100
	s_delay_alu instid0(VALU_DEP_1) | instskip(NEXT) | instid1(VALU_DEP_2)
	v_fmac_f32_e32 v91, -0.5, v85
	v_dual_add_f32 v85, v115, v83 :: v_dual_sub_f32 v114, v114, v108
	v_mul_f32_e32 v83, 0x3f248dbb, v83
	s_delay_alu instid0(VALU_DEP_2) | instskip(NEXT) | instid1(VALU_DEP_3)
	v_sub_f32_e32 v85, v85, v110
	v_fmac_f32_e32 v91, 0xbf5db3d7, v114
	s_delay_alu instid0(VALU_DEP_3) | instskip(NEXT) | instid1(VALU_DEP_3)
	v_fmac_f32_e32 v83, 0x3f7c1c5c, v110
	v_fmac_f32_e32 v90, 0x3f5db3d7, v85
	v_mul_f32_e32 v85, 0x3f5db3d7, v85
	s_delay_alu instid0(VALU_DEP_3) | instskip(SKIP_4) | instid1(VALU_DEP_3)
	v_fmac_f32_e32 v83, 0x3f5db3d7, v106
	ds_store_2addr_b64 v117, v[92:93], v[90:91] offset0:124 offset1:175
	v_mul_f32_e32 v92, 0x3f5db3d7, v114
	v_fma_f32 v90, -2.0, v85, v90
	v_fmac_f32_e32 v83, 0x3eaf1d44, v115
	v_fma_f32 v91, 2.0, v92, v91
	ds_store_2addr_b64 v81, v[90:91], v[94:95] offset0:200 offset1:251
	v_add_f32_e32 v81, v111, v101
	s_delay_alu instid0(VALU_DEP_1) | instskip(NEXT) | instid1(VALU_DEP_1)
	v_add_f32_e32 v81, v86, v81
	v_add_f32_e32 v81, v87, v81
	v_mul_f32_e32 v87, 0x3f248dbb, v100
	s_delay_alu instid0(VALU_DEP_2) | instskip(NEXT) | instid1(VALU_DEP_2)
	v_dual_add_f32 v81, v81, v80 :: v_dual_fmamk_f32 v80, v99, 0x3f441b7d, v80
	v_fmac_f32_e32 v87, 0x3f7c1c5c, v108
	s_delay_alu instid0(VALU_DEP_2) | instskip(NEXT) | instid1(VALU_DEP_2)
	v_fmac_f32_e32 v80, 0x3e31d0d4, v102
	v_fmac_f32_e32 v87, 0x3f5db3d7, v107
	s_delay_alu instid0(VALU_DEP_2) | instskip(NEXT) | instid1(VALU_DEP_2)
	v_fmac_f32_e32 v80, -0.5, v111
	v_fmac_f32_e32 v87, 0x3eaf1d44, v103
	s_delay_alu instid0(VALU_DEP_2) | instskip(NEXT) | instid1(VALU_DEP_1)
	v_fmac_f32_e32 v80, 0xbf708fb2, v118
	v_dual_add_f32 v85, v83, v80 :: v_dual_fmac_f32 v116, 0x3e31d0d4, v109
	v_add_nc_u32_e32 v80, 0x1800, v79
	s_delay_alu instid0(VALU_DEP_2) | instskip(NEXT) | instid1(VALU_DEP_1)
	v_fmac_f32_e32 v116, -0.5, v113
	v_fmac_f32_e32 v116, 0xbf708fb2, v98
	s_delay_alu instid0(VALU_DEP_1)
	v_sub_f32_e32 v86, v116, v87
	ds_store_2addr_b64 v80, v[81:82], v[85:86] offset0:150 offset1:201
	v_fma_f32 v80, -2.0, v83, v85
	v_fma_f32 v81, 2.0, v87, v86
	ds_store_b64 v79, v[80:81] offset:10608
	v_lshlrev_b32_e32 v80, 4, v197
	global_wb scope:SCOPE_SE
	s_wait_storecnt_dscnt 0x0
	s_barrier_signal -1
	s_barrier_wait -1
	global_inv scope:SCOPE_SE
	s_clause 0x1
	global_load_b128 v[80:83], v80, s[0:1] offset:3536
	global_load_b128 v[84:87], v84, s[0:1] offset:3536
	ds_load_2addr_b64 v[90:93], v139 offset0:150 offset1:201
	ds_load_2addr_b64 v[98:101], v140 offset0:126 offset1:177
	s_wait_loadcnt_dscnt 0x101
	v_mul_f32_e32 v94, v91, v83
	v_mul_f32_e32 v131, v90, v83
	s_wait_loadcnt_dscnt 0x0
	v_dual_mul_f32 v135, v92, v87 :: v_dual_mul_f32 v124, v98, v85
	s_delay_alu instid0(VALU_DEP_3) | instskip(NEXT) | instid1(VALU_DEP_3)
	v_fma_f32 v130, v90, v82, -v94
	v_dual_mul_f32 v90, v93, v87 :: v_dual_fmac_f32 v131, v91, v82
	s_delay_alu instid0(VALU_DEP_3) | instskip(SKIP_1) | instid1(VALU_DEP_3)
	v_dual_fmac_f32 v135, v93, v86 :: v_dual_fmac_f32 v124, v99, v84
	v_lshlrev_b32_e32 v96, 4, v96
	v_fma_f32 v132, v92, v86, -v90
	v_mul_f32_e32 v90, v99, v85
	s_delay_alu instid0(VALU_DEP_1)
	v_fma_f32 v125, v98, v84, -v90
	s_clause 0x1
	global_load_b128 v[92:95], v88, s[0:1] offset:3536
	global_load_b128 v[88:91], v89, s[0:1] offset:3536
	ds_load_2addr_b64 v[106:109], v141 offset0:100 offset1:151
	v_add_f32_e32 v133, v125, v132
	s_wait_loadcnt 0x1
	v_mul_f32_e32 v98, v101, v93
	v_mul_f32_e32 v137, v100, v93
	s_wait_loadcnt_dscnt 0x0
	v_mul_f32_e32 v128, v106, v89
	s_delay_alu instid0(VALU_DEP_3) | instskip(NEXT) | instid1(VALU_DEP_3)
	v_fma_f32 v136, v100, v92, -v98
	v_fmac_f32_e32 v137, v101, v92
	ds_load_2addr_b64 v[98:101], v153 offset0:124 offset1:175
	v_fmac_f32_e32 v128, v107, v88
	s_wait_dscnt 0x0
	v_mul_f32_e32 v102, v99, v95
	v_mul_f32_e32 v143, v98, v95
	;; [unrolled: 1-line block ×3, first 2 shown]
	s_delay_alu instid0(VALU_DEP_3) | instskip(NEXT) | instid1(VALU_DEP_3)
	v_fma_f32 v138, v98, v94, -v102
	v_dual_mul_f32 v98, v101, v91 :: v_dual_fmac_f32 v143, v99, v94
	s_delay_alu instid0(VALU_DEP_3) | instskip(NEXT) | instid1(VALU_DEP_3)
	v_fmac_f32_e32 v145, v101, v90
	v_sub_f32_e32 v172, v136, v138
	s_delay_alu instid0(VALU_DEP_3) | instskip(SKIP_1) | instid1(VALU_DEP_1)
	v_fma_f32 v144, v100, v90, -v98
	v_mul_f32_e32 v98, v107, v89
	v_fma_f32 v129, v106, v88, -v98
	s_clause 0x1
	global_load_b128 v[100:103], v97, s[0:1] offset:3536
	global_load_b128 v[96:99], v96, s[0:1] offset:3536
	ds_load_2addr_b64 v[113:116], v141 offset0:202 offset1:253
	s_wait_loadcnt 0x1
	v_mul_f32_e32 v106, v109, v101
	v_mul_f32_e32 v147, v108, v101
	s_wait_loadcnt_dscnt 0x0
	v_mul_f32_e32 v155, v113, v97
	s_delay_alu instid0(VALU_DEP_3) | instskip(NEXT) | instid1(VALU_DEP_3)
	v_fma_f32 v146, v108, v100, -v106
	v_fmac_f32_e32 v147, v109, v100
	ds_load_2addr_b64 v[106:109], v154 offset0:98 offset1:149
	s_wait_dscnt 0x0
	v_dual_fmac_f32 v155, v114, v96 :: v_dual_mul_f32 v110, v107, v103
	v_mul_f32_e32 v149, v106, v103
	v_mul_f32_e32 v151, v108, v99
	s_delay_alu instid0(VALU_DEP_3) | instskip(NEXT) | instid1(VALU_DEP_3)
	v_fma_f32 v148, v106, v102, -v110
	v_dual_mul_f32 v106, v109, v99 :: v_dual_fmac_f32 v149, v107, v102
	s_delay_alu instid0(VALU_DEP_3) | instskip(NEXT) | instid1(VALU_DEP_2)
	v_fmac_f32_e32 v151, v109, v98
	v_fma_f32 v150, v108, v98, -v106
	v_mul_f32_e32 v106, v114, v97
	s_delay_alu instid0(VALU_DEP_1)
	v_fma_f32 v152, v113, v96, -v106
	s_clause 0x1
	global_load_b128 v[108:111], v104, s[0:1] offset:3536
	global_load_b128 v[104:107], v105, s[0:1] offset:3536
	ds_load_2addr_b64 v[120:123], v142 offset0:152 offset1:203
	s_wait_dscnt 0x0
	v_mul_f32_e32 v127, v122, v81
	s_delay_alu instid0(VALU_DEP_1) | instskip(SKIP_1) | instid1(VALU_DEP_1)
	v_fmac_f32_e32 v127, v123, v80
	s_wait_loadcnt 0x1
	v_dual_sub_f32 v134, v127, v131 :: v_dual_mul_f32 v113, v116, v109
	v_mul_f32_e32 v157, v115, v109
	s_delay_alu instid0(VALU_DEP_2) | instskip(NEXT) | instid1(VALU_DEP_2)
	v_fma_f32 v156, v115, v108, -v113
	v_fmac_f32_e32 v157, v116, v108
	ds_load_2addr_b64 v[113:116], v154 offset0:200 offset1:251
	s_wait_dscnt 0x0
	v_mul_f32_e32 v117, v114, v111
	v_mul_f32_e32 v159, v113, v111
	s_wait_loadcnt 0x0
	v_mul_f32_e32 v161, v115, v107
	s_delay_alu instid0(VALU_DEP_3) | instskip(SKIP_2) | instid1(VALU_DEP_4)
	v_fma_f32 v158, v113, v110, -v117
	v_mul_f32_e32 v113, v116, v107
	v_fmac_f32_e32 v159, v114, v110
	v_fmac_f32_e32 v161, v116, v106
	s_delay_alu instid0(VALU_DEP_3) | instskip(SKIP_4) | instid1(VALU_DEP_2)
	v_fma_f32 v160, v115, v106, -v113
	ds_load_2addr_b64 v[114:117], v139 offset0:48 offset1:99
	s_wait_dscnt 0x0
	v_mul_f32_e32 v113, v115, v105
	v_mul_f32_e32 v163, v114, v105
	v_fma_f32 v162, v114, v104, -v113
	s_delay_alu instid0(VALU_DEP_2)
	v_fmac_f32_e32 v163, v115, v104
	global_load_b128 v[112:115], v112, s[0:1] offset:3536
	s_add_nc_u64 s[0:1], s[12:13], 0x2b08
	s_wait_loadcnt 0x0
	v_mul_f32_e32 v118, v117, v113
	v_mul_f32_e32 v165, v116, v113
	s_delay_alu instid0(VALU_DEP_2) | instskip(NEXT) | instid1(VALU_DEP_2)
	v_fma_f32 v164, v116, v112, -v118
	v_dual_mul_f32 v116, v123, v81 :: v_dual_fmac_f32 v165, v117, v112
	v_add_f32_e32 v123, v127, v131
	s_delay_alu instid0(VALU_DEP_2) | instskip(SKIP_3) | instid1(VALU_DEP_1)
	v_fma_f32 v126, v122, v80, -v116
	ds_load_2addr_b64 v[116:119], v212 offset1:51
	v_add_f32_e32 v122, v126, v130
	s_wait_dscnt 0x0
	v_fma_f32 v122, -0.5, v122, v116
	v_fma_f32 v123, -0.5, v123, v117
	v_add_f32_e32 v166, v118, v125
	v_fma_f32 v118, -0.5, v133, v118
	v_add_f32_e32 v133, v124, v135
	v_dual_add_f32 v169, v117, v127 :: v_dual_sub_f32 v168, v126, v130
	v_add_f32_e32 v167, v119, v124
	v_sub_f32_e32 v127, v137, v143
	s_delay_alu instid0(VALU_DEP_4) | instskip(SKIP_4) | instid1(VALU_DEP_1)
	v_fmac_f32_e32 v119, -0.5, v133
	v_fmamk_f32 v133, v134, 0x3f5db3d7, v122
	v_fmac_f32_e32 v122, 0xbf5db3d7, v134
	v_fmamk_f32 v134, v168, 0xbf5db3d7, v123
	v_dual_fmac_f32 v123, 0x3f5db3d7, v168 :: v_dual_sub_f32 v168, v124, v135
	v_fmamk_f32 v124, v168, 0x3f5db3d7, v118
	v_fmac_f32_e32 v118, 0xbf5db3d7, v168
	v_sub_f32_e32 v168, v125, v132
	s_delay_alu instid0(VALU_DEP_1)
	v_fmamk_f32 v125, v168, 0xbf5db3d7, v119
	v_dual_fmac_f32 v119, 0x3f5db3d7, v168 :: v_dual_add_f32 v168, v116, v126
	v_add_f32_e32 v126, v129, v144
	ds_store_2addr_b64 v139, v[122:123], v[118:119] offset0:150 offset1:201
	ds_load_2addr_b64 v[116:119], v212 offset0:102 offset1:153
	v_dual_add_f32 v122, v136, v138 :: v_dual_add_f32 v123, v137, v143
	s_wait_dscnt 0x0
	s_delay_alu instid0(VALU_DEP_1) | instskip(NEXT) | instid1(VALU_DEP_2)
	v_fma_f32 v122, -0.5, v122, v116
	v_fma_f32 v123, -0.5, v123, v117
	v_add_f32_e32 v170, v118, v129
	v_fma_f32 v118, -0.5, v126, v118
	v_dual_add_f32 v126, v128, v145 :: v_dual_add_f32 v171, v119, v128
	s_delay_alu instid0(VALU_DEP_1) | instskip(SKIP_2) | instid1(VALU_DEP_1)
	v_dual_fmac_f32 v119, -0.5, v126 :: v_dual_fmamk_f32 v126, v127, 0x3f5db3d7, v122
	v_dual_fmac_f32 v122, 0xbf5db3d7, v127 :: v_dual_fmamk_f32 v127, v172, 0xbf5db3d7, v123
	v_dual_fmac_f32 v123, 0x3f5db3d7, v172 :: v_dual_sub_f32 v172, v128, v145
	v_fmamk_f32 v128, v172, 0x3f5db3d7, v118
	v_fmac_f32_e32 v118, 0xbf5db3d7, v172
	v_sub_f32_e32 v172, v129, v144
	s_delay_alu instid0(VALU_DEP_1)
	v_fmamk_f32 v129, v172, 0xbf5db3d7, v119
	v_fmac_f32_e32 v119, 0x3f5db3d7, v172
	ds_store_2addr_b64 v153, v[122:123], v[118:119] offset0:124 offset1:175
	v_dual_add_f32 v122, v116, v136 :: v_dual_add_f32 v123, v117, v137
	v_dual_add_f32 v116, v168, v130 :: v_dual_add_f32 v117, v169, v131
	;; [unrolled: 1-line block ×3, first 2 shown]
	v_dual_add_f32 v137, v163, v161 :: v_dual_sub_f32 v136, v156, v158
	ds_store_2addr_b64 v212, v[116:117], v[118:119] offset1:51
	v_dual_add_f32 v116, v122, v138 :: v_dual_add_f32 v117, v123, v143
	v_dual_add_f32 v118, v170, v144 :: v_dual_add_f32 v119, v171, v145
	v_sub_f32_e32 v143, v162, v160
	ds_store_2addr_b64 v212, v[116:117], v[118:119] offset0:102 offset1:153
	ds_load_2addr_b64 v[116:119], v212 offset0:204 offset1:255
	s_wait_dscnt 0x0
	v_dual_add_f32 v122, v116, v146 :: v_dual_add_f32 v123, v117, v147
	v_dual_add_f32 v130, v118, v152 :: v_dual_add_f32 v131, v119, v155
	s_delay_alu instid0(VALU_DEP_2) | instskip(NEXT) | instid1(VALU_DEP_2)
	v_dual_add_f32 v122, v122, v148 :: v_dual_add_f32 v123, v123, v149
	v_dual_add_f32 v130, v130, v150 :: v_dual_add_f32 v131, v131, v151
	ds_store_2addr_b64 v212, v[122:123], v[130:131] offset0:204 offset1:255
	ds_store_2addr_b64 v140, v[124:125], v[126:127] offset0:126 offset1:177
	v_dual_add_f32 v122, v147, v149 :: v_dual_add_f32 v123, v146, v148
	v_dual_sub_f32 v124, v147, v149 :: v_dual_sub_f32 v125, v146, v148
	v_add_f32_e32 v127, v152, v150
	s_delay_alu instid0(VALU_DEP_3) | instskip(NEXT) | instid1(VALU_DEP_4)
	v_fma_f32 v117, -0.5, v122, v117
	v_fma_f32 v116, -0.5, v123, v116
	s_delay_alu instid0(VALU_DEP_3) | instskip(NEXT) | instid1(VALU_DEP_3)
	v_fma_f32 v118, -0.5, v127, v118
	v_fmamk_f32 v123, v125, 0xbf5db3d7, v117
	s_delay_alu instid0(VALU_DEP_3)
	v_fmamk_f32 v122, v124, 0x3f5db3d7, v116
	v_dual_sub_f32 v127, v152, v150 :: v_dual_fmac_f32 v116, 0xbf5db3d7, v124
	v_fmac_f32_e32 v117, 0x3f5db3d7, v125
	v_add_f32_e32 v125, v157, v159
	ds_store_2addr_b64 v141, v[128:129], v[122:123] offset0:100 offset1:151
	ds_load_b64 v[122:123], v212 offset:10608
	s_wait_dscnt 0x0
	v_mul_f32_e32 v126, v123, v115
	s_delay_alu instid0(VALU_DEP_1) | instskip(SKIP_2) | instid1(VALU_DEP_3)
	v_fma_f32 v135, v122, v114, -v126
	v_add_f32_e32 v126, v155, v151
	v_mul_f32_e32 v122, v122, v115
	v_add_f32_e32 v145, v164, v135
	s_delay_alu instid0(VALU_DEP_3) | instskip(NEXT) | instid1(VALU_DEP_3)
	v_fmac_f32_e32 v119, -0.5, v126
	v_fmac_f32_e32 v122, v123, v114
	v_sub_f32_e32 v123, v155, v151
	v_sub_f32_e32 v146, v164, v135
	s_delay_alu instid0(VALU_DEP_4)
	v_fmamk_f32 v132, v127, 0xbf5db3d7, v119
	v_fmac_f32_e32 v119, 0x3f5db3d7, v127
	ds_load_2addr_b64 v[127:130], v142 offset0:50 offset1:101
	v_fmamk_f32 v131, v123, 0x3f5db3d7, v118
	v_fmac_f32_e32 v118, 0xbf5db3d7, v123
	v_sub_f32_e32 v144, v165, v122
	ds_store_2addr_b64 v154, v[116:117], v[118:119] offset0:98 offset1:149
	s_wait_dscnt 0x1
	v_add_f32_e32 v117, v128, v157
	v_add_f32_e32 v123, v127, v156
	v_fma_f32 v128, -0.5, v125, v128
	v_add_f32_e32 v138, v129, v162
	s_delay_alu instid0(VALU_DEP_4) | instskip(NEXT) | instid1(VALU_DEP_3)
	v_dual_add_f32 v124, v117, v159 :: v_dual_add_f32 v117, v156, v158
	v_dual_fmamk_f32 v126, v136, 0xbf5db3d7, v128 :: v_dual_add_f32 v123, v123, v158
	s_delay_alu instid0(VALU_DEP_2) | instskip(SKIP_3) | instid1(VALU_DEP_1)
	v_fma_f32 v127, -0.5, v117, v127
	v_add_f32_e32 v117, v120, v164
	v_fma_f32 v120, -0.5, v145, v120
	v_sub_f32_e32 v116, v157, v159
	v_fmamk_f32 v125, v116, 0x3f5db3d7, v127
	ds_store_2addr_b64 v141, v[131:132], v[125:126] offset0:202 offset1:253
	v_add_f32_e32 v132, v121, v165
	v_add_f32_e32 v131, v117, v135
	s_delay_alu instid0(VALU_DEP_2)
	v_dual_sub_f32 v117, v163, v161 :: v_dual_add_f32 v132, v132, v122
	v_add_f32_e32 v122, v165, v122
	ds_store_2addr_b64 v142, v[131:132], v[133:134] offset0:152 offset1:203
	v_dual_add_f32 v133, v130, v163 :: v_dual_fmac_f32 v130, -0.5, v137
	v_fmac_f32_e32 v121, -0.5, v122
	v_fmamk_f32 v137, v144, 0x3f5db3d7, v120
	s_delay_alu instid0(VALU_DEP_3) | instskip(SKIP_4) | instid1(VALU_DEP_3)
	v_dual_fmac_f32 v127, 0xbf5db3d7, v116 :: v_dual_add_f32 v134, v133, v161
	v_add_f32_e32 v133, v138, v160
	v_add_f32_e32 v138, v162, v160
	v_lshlrev_b32_e32 v116, 3, v197
	v_fmac_f32_e32 v120, 0xbf5db3d7, v144
	v_fma_f32 v129, -0.5, v138, v129
	v_fmamk_f32 v138, v146, 0xbf5db3d7, v121
	v_fmac_f32_e32 v121, 0x3f5db3d7, v146
	s_delay_alu instid0(VALU_DEP_3)
	v_dual_fmamk_f32 v135, v117, 0x3f5db3d7, v129 :: v_dual_fmac_f32 v128, 0x3f5db3d7, v136
	v_dual_fmac_f32 v129, 0xbf5db3d7, v117 :: v_dual_fmamk_f32 v136, v143, 0xbf5db3d7, v130
	v_fmac_f32_e32 v130, 0x3f5db3d7, v143
	ds_store_2addr_b64 v142, v[123:124], v[133:134] offset0:50 offset1:101
	ds_store_2addr_b64 v154, v[127:128], v[129:130] offset0:200 offset1:251
	;; [unrolled: 1-line block ×3, first 2 shown]
	ds_store_b64 v212, v[120:121] offset:10608
	global_wb scope:SCOPE_SE
	s_wait_dscnt 0x0
	s_barrier_signal -1
	s_barrier_wait -1
	global_inv scope:SCOPE_SE
	s_clause 0x3
	global_load_b64 v[147:148], v[173:174], off offset:11016
	global_load_b64 v[149:150], v116, s[0:1] offset:648
	global_load_b64 v[151:152], v116, s[0:1] offset:1296
	;; [unrolled: 1-line block ×3, first 2 shown]
	ds_load_2addr_b64 v[143:146], v212 offset1:81
	s_wait_loadcnt_dscnt 0x300
	v_mul_f32_e32 v117, v144, v148
	v_mul_f32_e32 v158, v143, v148
	s_delay_alu instid0(VALU_DEP_2) | instskip(SKIP_1) | instid1(VALU_DEP_2)
	v_fma_f32 v157, v143, v147, -v117
	s_wait_loadcnt 0x2
	v_dual_fmac_f32 v158, v144, v147 :: v_dual_mul_f32 v117, v146, v150
	v_mul_f32_e32 v144, v145, v150
	s_delay_alu instid0(VALU_DEP_2) | instskip(NEXT) | instid1(VALU_DEP_2)
	v_fma_f32 v143, v145, v149, -v117
	v_fmac_f32_e32 v144, v146, v149
	ds_store_2addr_b64 v212, v[157:158], v[143:144] offset1:81
	ds_load_2addr_b64 v[143:146], v212 offset0:162 offset1:243
	s_wait_loadcnt_dscnt 0x100
	v_mul_f32_e32 v117, v144, v152
	v_mul_f32_e32 v148, v143, v152
	s_wait_loadcnt 0x0
	v_mul_f32_e32 v150, v145, v156
	s_delay_alu instid0(VALU_DEP_3) | instskip(NEXT) | instid1(VALU_DEP_3)
	v_fma_f32 v147, v143, v151, -v117
	v_dual_mul_f32 v117, v146, v156 :: v_dual_fmac_f32 v148, v144, v151
	s_delay_alu instid0(VALU_DEP_3) | instskip(NEXT) | instid1(VALU_DEP_2)
	v_fmac_f32_e32 v150, v146, v155
	v_fma_f32 v149, v145, v155, -v117
	s_clause 0x3
	global_load_b64 v[151:152], v116, s[0:1] offset:2592
	global_load_b64 v[155:156], v116, s[0:1] offset:3240
	;; [unrolled: 1-line block ×4, first 2 shown]
	ds_load_2addr_b64 v[143:146], v142 offset0:68 offset1:149
	s_wait_loadcnt_dscnt 0x300
	v_mul_f32_e32 v117, v144, v152
	v_mul_f32_e32 v162, v143, v152
	s_wait_loadcnt 0x2
	v_mul_f32_e32 v152, v145, v156
	s_delay_alu instid0(VALU_DEP_3) | instskip(NEXT) | instid1(VALU_DEP_3)
	v_fma_f32 v161, v143, v151, -v117
	v_dual_mul_f32 v117, v146, v156 :: v_dual_fmac_f32 v162, v144, v151
	s_delay_alu instid0(VALU_DEP_3) | instskip(NEXT) | instid1(VALU_DEP_2)
	v_fmac_f32_e32 v152, v146, v155
	v_fma_f32 v151, v145, v155, -v117
	ds_load_2addr_b64 v[143:146], v140 offset0:102 offset1:183
	s_wait_loadcnt_dscnt 0x100
	v_mul_f32_e32 v117, v144, v158
	v_mul_f32_e32 v156, v143, v158
	s_wait_loadcnt 0x0
	v_mul_f32_e32 v158, v145, v160
	s_delay_alu instid0(VALU_DEP_3) | instskip(NEXT) | instid1(VALU_DEP_3)
	v_fma_f32 v155, v143, v157, -v117
	v_dual_mul_f32 v117, v146, v160 :: v_dual_fmac_f32 v156, v144, v157
	s_delay_alu instid0(VALU_DEP_3) | instskip(NEXT) | instid1(VALU_DEP_2)
	v_fmac_f32_e32 v158, v146, v159
	v_fma_f32 v157, v145, v159, -v117
	s_clause 0x3
	global_load_b64 v[159:160], v116, s[0:1] offset:5184
	global_load_b64 v[163:164], v116, s[0:1] offset:5832
	;; [unrolled: 1-line block ×4, first 2 shown]
	ds_load_2addr_b64 v[143:146], v141 offset0:136 offset1:217
	s_wait_loadcnt_dscnt 0x300
	v_mul_f32_e32 v117, v144, v160
	v_mul_f32_e32 v170, v143, v160
	s_wait_loadcnt 0x2
	v_mul_f32_e32 v160, v145, v164
	s_delay_alu instid0(VALU_DEP_3) | instskip(NEXT) | instid1(VALU_DEP_3)
	v_fma_f32 v169, v143, v159, -v117
	v_dual_mul_f32 v117, v146, v164 :: v_dual_fmac_f32 v170, v144, v159
	s_delay_alu instid0(VALU_DEP_3) | instskip(NEXT) | instid1(VALU_DEP_2)
	v_fmac_f32_e32 v160, v146, v163
	v_fma_f32 v159, v145, v163, -v117
	ds_load_2addr_b64 v[143:146], v139 offset0:42 offset1:123
	s_wait_loadcnt_dscnt 0x100
	v_mul_f32_e32 v117, v144, v166
	v_mul_f32_e32 v164, v143, v166
	s_wait_loadcnt 0x0
	v_mul_f32_e32 v166, v145, v168
	s_delay_alu instid0(VALU_DEP_3) | instskip(NEXT) | instid1(VALU_DEP_3)
	v_fma_f32 v163, v143, v165, -v117
	v_dual_mul_f32 v117, v146, v168 :: v_dual_fmac_f32 v164, v144, v165
	s_delay_alu instid0(VALU_DEP_3) | instskip(NEXT) | instid1(VALU_DEP_2)
	v_fmac_f32_e32 v166, v146, v167
	v_fma_f32 v165, v145, v167, -v117
	s_clause 0x3
	global_load_b64 v[167:168], v116, s[0:1] offset:7776
	global_load_b64 v[171:172], v116, s[0:1] offset:8424
	;; [unrolled: 1-line block ×4, first 2 shown]
	ds_load_2addr_b64 v[143:146], v153 offset0:76 offset1:157
	s_wait_loadcnt_dscnt 0x300
	v_mul_f32_e32 v117, v144, v168
	v_mul_f32_e32 v231, v143, v168
	s_wait_loadcnt 0x2
	v_mul_f32_e32 v168, v145, v172
	s_delay_alu instid0(VALU_DEP_3) | instskip(SKIP_2) | instid1(VALU_DEP_4)
	v_fma_f32 v230, v143, v167, -v117
	v_mul_f32_e32 v117, v146, v172
	v_fmac_f32_e32 v231, v144, v167
	v_fmac_f32_e32 v168, v146, v171
	s_delay_alu instid0(VALU_DEP_3) | instskip(SKIP_4) | instid1(VALU_DEP_2)
	v_fma_f32 v167, v145, v171, -v117
	ds_load_2addr_b64 v[143:146], v154 offset0:110 offset1:191
	s_wait_loadcnt_dscnt 0x100
	v_mul_f32_e32 v117, v144, v227
	v_mul_f32_e32 v172, v143, v227
	v_fma_f32 v171, v143, v226, -v117
	s_wait_loadcnt 0x0
	s_delay_alu instid0(VALU_DEP_2)
	v_dual_fmac_f32 v172, v144, v226 :: v_dual_mul_f32 v117, v146, v229
	v_mul_f32_e32 v144, v145, v229
	ds_load_b64 v[226:227], v212 offset:10368
	v_fma_f32 v143, v145, v228, -v117
	v_fmac_f32_e32 v144, v146, v228
	global_load_b64 v[145:146], v116, s[0:1] offset:10368
	s_wait_loadcnt_dscnt 0x0
	v_mul_f32_e32 v117, v227, v146
	v_mul_f32_e32 v229, v226, v146
	s_delay_alu instid0(VALU_DEP_2) | instskip(NEXT) | instid1(VALU_DEP_2)
	v_fma_f32 v228, v226, v145, -v117
	v_fmac_f32_e32 v229, v227, v145
	ds_store_2addr_b64 v212, v[147:148], v[149:150] offset0:162 offset1:243
	ds_store_2addr_b64 v142, v[161:162], v[151:152] offset0:68 offset1:149
	;; [unrolled: 1-line block ×7, first 2 shown]
	ds_store_b64 v212, v[228:229] offset:10368
	s_and_saveexec_b32 s2, vcc_lo
	s_cbranch_execz .LBB0_9
; %bb.8:
	s_wait_alu 0xfffe
	v_add_co_u32 v116, s0, s0, v116
	s_wait_alu 0xf1ff
	v_add_co_ci_u32_e64 v117, null, s1, 0, s0
	s_clause 0xd
	global_load_b64 v[147:148], v[116:117], off offset:408
	global_load_b64 v[149:150], v[116:117], off offset:1056
	;; [unrolled: 1-line block ×14, first 2 shown]
	ds_load_2addr_b64 v[143:146], v212 offset0:51 offset1:132
	s_wait_loadcnt_dscnt 0xd00
	v_mul_f32_e32 v122, v144, v148
	s_wait_loadcnt 0xc
	v_dual_mul_f32 v231, v143, v148 :: v_dual_mul_f32 v232, v146, v150
	s_delay_alu instid0(VALU_DEP_2) | instskip(NEXT) | instid1(VALU_DEP_2)
	v_fma_f32 v230, v143, v147, -v122
	v_dual_fmac_f32 v231, v144, v147 :: v_dual_mul_f32 v144, v145, v150
	global_load_b64 v[147:148], v[116:117], off offset:9480
	v_fma_f32 v143, v145, v149, -v232
	v_add_nc_u32_e32 v122, 0x400, v212
	v_add_nc_u32_e32 v232, 0x1400, v212
	v_fmac_f32_e32 v144, v146, v149
	s_clause 0x1
	global_load_b64 v[149:150], v[116:117], off offset:10128
	global_load_b64 v[116:117], v[116:117], off offset:10776
	ds_store_2addr_b64 v212, v[230:231], v[143:144] offset0:51 offset1:132
	ds_load_2addr_b64 v[143:146], v122 offset0:85 offset1:166
	s_wait_loadcnt_dscnt 0xe00
	v_mul_f32_e32 v231, v143, v152
	v_mul_f32_e32 v230, v144, v152
	s_wait_loadcnt 0xd
	s_delay_alu instid0(VALU_DEP_2) | instskip(NEXT) | instid1(VALU_DEP_2)
	v_dual_mul_f32 v152, v145, v156 :: v_dual_fmac_f32 v231, v144, v151
	v_fma_f32 v230, v143, v151, -v230
	v_mul_f32_e32 v143, v146, v156
	s_delay_alu instid0(VALU_DEP_3) | instskip(NEXT) | instid1(VALU_DEP_2)
	v_fmac_f32_e32 v152, v146, v155
	v_fma_f32 v151, v145, v155, -v143
	ds_load_2addr_b64 v[143:146], v142 offset0:119 offset1:200
	s_wait_loadcnt_dscnt 0xc00
	v_mul_f32_e32 v155, v144, v158
	v_mul_f32_e32 v156, v143, v158
	s_wait_loadcnt 0xb
	v_mul_f32_e32 v158, v145, v160
	s_delay_alu instid0(VALU_DEP_3) | instskip(NEXT) | instid1(VALU_DEP_3)
	v_fma_f32 v155, v143, v157, -v155
	v_dual_mul_f32 v143, v146, v160 :: v_dual_fmac_f32 v156, v144, v157
	s_delay_alu instid0(VALU_DEP_3) | instskip(NEXT) | instid1(VALU_DEP_2)
	v_fmac_f32_e32 v158, v146, v159
	v_fma_f32 v157, v145, v159, -v143
	ds_load_2addr_b64 v[143:146], v141 offset0:25 offset1:106
	s_wait_loadcnt_dscnt 0xa00
	v_mul_f32_e32 v159, v144, v162
	v_mul_f32_e32 v160, v143, v162
	s_wait_loadcnt 0x9
	v_mul_f32_e32 v162, v145, v164
	s_delay_alu instid0(VALU_DEP_3) | instskip(NEXT) | instid1(VALU_DEP_3)
	v_fma_f32 v159, v143, v161, -v159
	v_dual_mul_f32 v143, v146, v164 :: v_dual_fmac_f32 v160, v144, v161
	;; [unrolled: 12-line block ×4, first 2 shown]
	s_delay_alu instid0(VALU_DEP_3) | instskip(NEXT) | instid1(VALU_DEP_2)
	v_fmac_f32_e32 v170, v146, v171
	v_fma_f32 v169, v145, v171, -v143
	ds_load_2addr_b64 v[143:146], v153 offset0:127 offset1:208
	s_wait_loadcnt_dscnt 0x400
	v_mul_f32_e32 v171, v144, v227
	s_wait_loadcnt 0x3
	v_dual_mul_f32 v172, v143, v227 :: v_dual_mul_f32 v227, v145, v229
	s_delay_alu instid0(VALU_DEP_2) | instskip(NEXT) | instid1(VALU_DEP_2)
	v_fma_f32 v171, v143, v226, -v171
	v_dual_mul_f32 v143, v146, v229 :: v_dual_fmac_f32 v172, v144, v226
	s_delay_alu instid0(VALU_DEP_3) | instskip(NEXT) | instid1(VALU_DEP_2)
	v_fmac_f32_e32 v227, v146, v228
	v_fma_f32 v226, v145, v228, -v143
	ds_load_2addr_b64 v[143:146], v154 offset0:161 offset1:242
	s_wait_loadcnt_dscnt 0x200
	v_mul_f32_e32 v228, v144, v148
	v_mul_f32_e32 v229, v143, v148
	s_delay_alu instid0(VALU_DEP_2) | instskip(NEXT) | instid1(VALU_DEP_2)
	v_fma_f32 v228, v143, v147, -v228
	v_fmac_f32_e32 v229, v144, v147
	s_wait_loadcnt 0x1
	v_mul_f32_e32 v143, v146, v150
	v_mul_f32_e32 v144, v145, v150
	s_delay_alu instid0(VALU_DEP_2) | instskip(NEXT) | instid1(VALU_DEP_2)
	v_fma_f32 v143, v145, v149, -v143
	v_fmac_f32_e32 v144, v146, v149
	ds_load_b64 v[145:146], v212 offset:10776
	s_wait_loadcnt_dscnt 0x0
	v_mul_f32_e32 v147, v146, v117
	v_mul_f32_e32 v148, v145, v117
	s_delay_alu instid0(VALU_DEP_2) | instskip(NEXT) | instid1(VALU_DEP_2)
	v_fma_f32 v147, v145, v116, -v147
	v_fmac_f32_e32 v148, v146, v116
	ds_store_2addr_b64 v122, v[230:231], v[151:152] offset0:85 offset1:166
	ds_store_2addr_b64 v142, v[155:156], v[157:158] offset0:119 offset1:200
	;; [unrolled: 1-line block ×7, first 2 shown]
	ds_store_b64 v212, v[147:148] offset:10776
.LBB0_9:
	s_wait_alu 0xfffe
	s_or_b32 exec_lo, exec_lo, s2
	global_wb scope:SCOPE_SE
	s_wait_dscnt 0x0
	s_barrier_signal -1
	s_barrier_wait -1
	global_inv scope:SCOPE_SE
	ds_load_2addr_b64 v[145:148], v212 offset1:81
	ds_load_2addr_b64 v[149:152], v212 offset0:162 offset1:243
	ds_load_2addr_b64 v[157:160], v142 offset0:68 offset1:149
	;; [unrolled: 1-line block ×7, first 2 shown]
	ds_load_b64 v[116:117], v212 offset:10368
	s_and_saveexec_b32 s0, vcc_lo
	s_cbranch_execz .LBB0_11
; %bb.10:
	ds_load_2addr_b64 v[121:124], v212 offset0:51 offset1:132
	v_add_nc_u32_e32 v0, 0x1000, v212
	v_add_nc_u32_e32 v1, 0x1400, v212
	s_wait_dscnt 0x0
	v_dual_mov_b32 v119, v122 :: v_dual_add_nc_u32 v2, 0x400, v212
	v_mov_b32_e32 v118, v121
	ds_load_2addr_b64 v[129:132], v0 offset0:25 offset1:106
	ds_load_2addr_b64 v[137:140], v1 offset0:59 offset1:140
	v_add_nc_u32_e32 v3, 0x800, v212
	v_add_nc_u32_e32 v0, 0x1800, v212
	;; [unrolled: 1-line block ×3, first 2 shown]
	ds_load_2addr_b64 v[125:128], v2 offset0:85 offset1:166
	v_add_nc_u32_e32 v2, 0x2000, v212
	s_wait_dscnt 0x1
	v_mov_b32_e32 v120, v139
	ds_load_2addr_b64 v[133:136], v3 offset0:119 offset1:200
	ds_load_2addr_b64 v[8:11], v0 offset0:93 offset1:174
	;; [unrolled: 1-line block ×3, first 2 shown]
	ds_load_b64 v[210:211], v212 offset:10776
	ds_load_2addr_b64 v[0:3], v2 offset0:161 offset1:242
	v_mov_b32_e32 v121, v140
.LBB0_11:
	s_wait_alu 0xfffe
	s_or_b32 exec_lo, exec_lo, s0
	s_wait_dscnt 0x8
	v_dual_add_f32 v122, v145, v147 :: v_dual_add_f32 v139, v146, v148
	s_wait_dscnt 0x3
	v_sub_f32_e32 v228, v172, v166
	v_dual_sub_f32 v226, v170, v168 :: v_dual_sub_f32 v227, v169, v167
	s_delay_alu instid0(VALU_DEP_3)
	v_dual_add_f32 v122, v122, v149 :: v_dual_add_f32 v139, v139, v150
	s_wait_dscnt 0x2
	v_sub_f32_e32 v230, v158, v164
	global_wb scope:SCOPE_SE
	s_wait_dscnt 0x0
	s_barrier_signal -1
	v_dual_add_f32 v122, v122, v151 :: v_dual_add_f32 v139, v139, v152
	s_barrier_wait -1
	global_inv scope:SCOPE_SE
	v_dual_add_f32 v229, v168, v170 :: v_dual_add_f32 v122, v122, v157
	s_delay_alu instid0(VALU_DEP_1) | instskip(NEXT) | instid1(VALU_DEP_1)
	v_dual_add_f32 v139, v139, v158 :: v_dual_add_f32 v122, v122, v159
	v_dual_add_f32 v139, v139, v160 :: v_dual_add_f32 v122, v122, v169
	s_delay_alu instid0(VALU_DEP_1) | instskip(SKIP_1) | instid1(VALU_DEP_2)
	v_add_f32_e32 v140, v139, v170
	v_add_f32_e32 v170, v165, v171
	v_dual_add_f32 v139, v122, v171 :: v_dual_add_f32 v140, v140, v172
	v_add_f32_e32 v122, v167, v169
	v_sub_f32_e32 v169, v171, v165
	v_add_f32_e32 v171, v164, v158
	s_delay_alu instid0(VALU_DEP_4) | instskip(SKIP_1) | instid1(VALU_DEP_3)
	v_dual_add_f32 v139, v139, v141 :: v_dual_add_f32 v140, v140, v142
	v_sub_f32_e32 v158, v159, v161
	v_mul_f32_e32 v180, 0x3dbcf732, v171
	s_delay_alu instid0(VALU_DEP_3) | instskip(NEXT) | instid1(VALU_DEP_1)
	v_dual_add_f32 v139, v139, v143 :: v_dual_add_f32 v140, v140, v144
	v_dual_add_f32 v139, v139, v165 :: v_dual_add_f32 v172, v166, v172
	s_delay_alu instid0(VALU_DEP_2) | instskip(SKIP_1) | instid1(VALU_DEP_3)
	v_dual_add_f32 v140, v140, v166 :: v_dual_add_f32 v165, v163, v157
	v_sub_f32_e32 v166, v157, v163
	v_add_f32_e32 v139, v139, v167
	v_add_f32_e32 v157, v161, v159
	s_delay_alu instid0(VALU_DEP_4) | instskip(SKIP_1) | instid1(VALU_DEP_4)
	v_dual_add_f32 v159, v155, v149 :: v_dual_add_f32 v140, v140, v168
	v_sub_f32_e32 v167, v160, v162
	v_dual_add_f32 v139, v139, v161 :: v_dual_add_f32 v160, v162, v160
	v_sub_f32_e32 v168, v150, v156
	s_delay_alu instid0(VALU_DEP_4) | instskip(SKIP_1) | instid1(VALU_DEP_4)
	v_dual_add_f32 v140, v140, v162 :: v_dual_sub_f32 v161, v149, v155
	v_add_f32_e32 v149, v153, v151
	v_dual_add_f32 v139, v139, v163 :: v_dual_add_f32 v162, v156, v150
	v_dual_sub_f32 v163, v152, v154 :: v_dual_add_f32 v152, v154, v152
	v_sub_f32_e32 v150, v151, v153
	v_sub_f32_e32 v151, v148, v117
	s_delay_alu instid0(VALU_DEP_4) | instskip(SKIP_2) | instid1(VALU_DEP_4)
	v_add_f32_e32 v139, v139, v153
	v_add_f32_e32 v153, v116, v147
	;; [unrolled: 1-line block ×3, first 2 shown]
	v_dual_add_f32 v148, v117, v148 :: v_dual_mul_f32 v233, 0xbf7ee86f, v151
	s_delay_alu instid0(VALU_DEP_4) | instskip(NEXT) | instid1(VALU_DEP_3)
	v_add_f32_e32 v139, v139, v155
	v_dual_mul_f32 v155, 0xbf2c7751, v151 :: v_dual_add_f32 v140, v140, v154
	v_dual_mul_f32 v154, 0xbeb8f4ab, v151 :: v_dual_sub_f32 v147, v147, v116
	s_delay_alu instid0(VALU_DEP_4) | instskip(NEXT) | instid1(VALU_DEP_3)
	v_dual_fmamk_f32 v234, v153, 0x3dbcf732, v233 :: v_dual_mul_f32 v241, 0x3dbcf732, v148
	v_dual_add_f32 v140, v140, v156 :: v_dual_fmamk_f32 v231, v153, 0x3f3d2fb0, v155
	s_delay_alu instid0(VALU_DEP_3)
	v_fmamk_f32 v164, v153, 0x3f6eb680, v154
	v_fma_f32 v154, 0x3f6eb680, v153, -v154
	v_mul_f32_e32 v156, 0xbf65296c, v151
	v_mul_f32_e32 v237, 0xbf4c4adb, v151
	;; [unrolled: 1-line block ×3, first 2 shown]
	v_fma_f32 v155, 0x3f3d2fb0, v153, -v155
	v_add_f32_e32 v217, v145, v154
	v_fmamk_f32 v232, v153, 0x3ee437d1, v156
	v_fma_f32 v156, 0x3ee437d1, v153, -v156
	v_mul_f32_e32 v238, 0xbf06c442, v151
	v_dual_fmamk_f32 v242, v153, 0xbf1a4643, v237 :: v_dual_mul_f32 v251, 0xbf1a4643, v148
	v_fma_f32 v243, 0xbf1a4643, v153, -v237
	v_dual_mul_f32 v237, 0x3f3d2fb0, v148 :: v_dual_add_f32 v176, v145, v234
	v_dual_fmamk_f32 v248, v147, 0x3f7ee86f, v241 :: v_dual_add_f32 v187, v145, v156
	v_mul_f32_e32 v235, 0xbf763a35, v151
	v_dual_fmamk_f32 v240, v147, 0x3f65296c, v239 :: v_dual_add_f32 v221, v145, v155
	s_delay_alu instid0(VALU_DEP_3) | instskip(SKIP_2) | instid1(VALU_DEP_3)
	v_dual_fmac_f32 v239, 0xbf65296c, v147 :: v_dual_add_f32 v248, v146, v248
	v_add_f32_e32 v219, v145, v231
	v_add_f32_e32 v223, v145, v232
	v_dual_fmamk_f32 v244, v153, 0xbf59a7d5, v238 :: v_dual_add_f32 v175, v146, v239
	v_fma_f32 v245, 0xbf59a7d5, v153, -v238
	v_fmamk_f32 v238, v147, 0x3f2c7751, v237
	v_mul_f32_e32 v151, 0xbe3c28d5, v151
	v_fmac_f32_e32 v241, 0xbf7ee86f, v147
	v_mul_f32_e32 v249, 0xbe8c1d8e, v148
	v_fma_f32 v233, 0x3dbcf732, v153, -v233
	v_add_f32_e32 v220, v146, v238
	v_add_f32_e32 v238, v145, v242
	v_fmamk_f32 v246, v153, 0xbf7ba420, v151
	v_fma_f32 v247, 0xbf7ba420, v153, -v151
	v_mul_f32_e32 v151, 0x3f6eb680, v148
	v_add_f32_e32 v214, v145, v164
	v_fmamk_f32 v236, v153, 0xbe8c1d8e, v235
	v_fma_f32 v235, 0xbe8c1d8e, v153, -v235
	v_dual_fmac_f32 v237, 0xbf2c7751, v147 :: v_dual_add_f32 v224, v146, v240
	v_dual_fmamk_f32 v250, v147, 0x3f763a35, v249 :: v_dual_add_f32 v177, v145, v233
	v_dual_fmac_f32 v249, 0xbf763a35, v147 :: v_dual_add_f32 v178, v146, v241
	v_mul_f32_e32 v252, 0xbf59a7d5, v148
	v_dual_fmamk_f32 v253, v147, 0x3f4c4adb, v251 :: v_dual_add_f32 v240, v145, v235
	v_mul_f32_e32 v148, 0xbf7ba420, v148
	v_dual_fmac_f32 v251, 0xbf4c4adb, v147 :: v_dual_add_f32 v234, v145, v244
	v_fmamk_f32 v153, v147, 0x3eb8f4ab, v151
	v_dual_fmac_f32 v151, 0xbeb8f4ab, v147 :: v_dual_add_f32 v222, v146, v237
	v_add_f32_e32 v237, v146, v253
	v_fmamk_f32 v255, v147, 0x3e3c28d5, v148
	v_dual_add_f32 v235, v146, v251 :: v_dual_add_f32 v116, v139, v116
	s_delay_alu instid0(VALU_DEP_4)
	v_dual_mul_f32 v139, 0xbf2c7751, v168 :: v_dual_add_f32 v218, v146, v151
	v_add_f32_e32 v179, v145, v236
	v_dual_add_f32 v239, v146, v249 :: v_dual_fmamk_f32 v254, v147, 0x3f06c442, v252
	v_fmac_f32_e32 v252, 0xbf06c442, v147
	v_add_f32_e32 v236, v145, v243
	v_dual_add_f32 v151, v146, v255 :: v_dual_add_f32 v232, v144, v142
	v_dual_add_f32 v117, v140, v117 :: v_dual_sub_f32 v164, v141, v143
	v_dual_sub_f32 v231, v142, v144 :: v_dual_add_f32 v156, v143, v141
	v_dual_fmamk_f32 v140, v159, 0x3f3d2fb0, v139 :: v_dual_mul_f32 v143, 0x3f3d2fb0, v162
	v_mul_f32_e32 v144, 0xbf65296c, v163
	v_dual_fmac_f32 v148, 0xbe3c28d5, v147 :: v_dual_add_f32 v155, v145, v245
	v_add_f32_e32 v216, v146, v153
	v_add_f32_e32 v241, v146, v250
	;; [unrolled: 1-line block ×3, first 2 shown]
	v_dual_add_f32 v154, v146, v252 :: v_dual_add_f32 v153, v145, v246
	v_dual_add_f32 v147, v145, v247 :: v_dual_add_f32 v148, v146, v148
	v_add_f32_e32 v140, v140, v214
	v_dual_fmamk_f32 v142, v149, 0x3ee437d1, v144 :: v_dual_mul_f32 v145, 0x3ee437d1, v152
	v_fmamk_f32 v141, v161, 0x3f2c7751, v143
	v_fma_f32 v139, 0x3f3d2fb0, v159, -v139
	v_mul_f32_e32 v214, 0xbf763a35, v167
	s_delay_alu instid0(VALU_DEP_4) | instskip(NEXT) | instid1(VALU_DEP_4)
	v_add_f32_e32 v140, v142, v140
	v_dual_fmamk_f32 v142, v150, 0x3f65296c, v145 :: v_dual_add_f32 v141, v141, v216
	s_delay_alu instid0(VALU_DEP_4) | instskip(SKIP_2) | instid1(VALU_DEP_4)
	v_add_f32_e32 v139, v139, v217
	v_fmac_f32_e32 v143, 0xbf2c7751, v161
	v_mul_f32_e32 v243, 0xbf1a4643, v229
	v_dual_mul_f32 v246, 0xbe3c28d5, v231 :: v_dual_add_f32 v141, v142, v141
	v_mul_f32_e32 v146, 0xbf7ee86f, v230
	v_fma_f32 v144, 0x3ee437d1, v149, -v144
	v_dual_mul_f32 v216, 0xbe8c1d8e, v160 :: v_dual_add_f32 v143, v143, v218
	v_fmac_f32_e32 v145, 0xbf65296c, v150
	s_delay_alu instid0(VALU_DEP_3) | instskip(SKIP_1) | instid1(VALU_DEP_2)
	v_dual_fmamk_f32 v142, v165, 0x3dbcf732, v146 :: v_dual_add_f32 v139, v144, v139
	v_mul_f32_e32 v245, 0xbf59a7d5, v172
	v_dual_add_f32 v143, v145, v143 :: v_dual_add_f32 v140, v142, v140
	v_fmamk_f32 v142, v166, 0x3f7ee86f, v180
	s_delay_alu instid0(VALU_DEP_1) | instskip(SKIP_2) | instid1(VALU_DEP_3)
	v_dual_add_f32 v141, v142, v141 :: v_dual_fmamk_f32 v142, v157, 0xbe8c1d8e, v214
	v_fma_f32 v144, 0x3dbcf732, v165, -v146
	v_mul_f32_e32 v242, 0xbf4c4adb, v226
	v_add_f32_e32 v140, v142, v140
	s_delay_alu instid0(VALU_DEP_3) | instskip(NEXT) | instid1(VALU_DEP_1)
	v_dual_fmamk_f32 v142, v158, 0x3f763a35, v216 :: v_dual_add_f32 v139, v144, v139
	v_dual_fmac_f32 v216, 0xbf763a35, v158 :: v_dual_add_f32 v141, v142, v141
	v_fmac_f32_e32 v180, 0xbf7ee86f, v166
	s_delay_alu instid0(VALU_DEP_1) | instskip(NEXT) | instid1(VALU_DEP_1)
	v_dual_fmamk_f32 v142, v122, 0xbf1a4643, v242 :: v_dual_add_f32 v143, v180, v143
	v_add_f32_e32 v140, v142, v140
	v_fmamk_f32 v142, v227, 0x3f4c4adb, v243
	v_fmac_f32_e32 v243, 0xbf4c4adb, v227
	v_mul_f32_e32 v180, 0xbf4c4adb, v163
	v_add_f32_e32 v143, v216, v143
	s_delay_alu instid0(VALU_DEP_4) | instskip(SKIP_1) | instid1(VALU_DEP_3)
	v_add_f32_e32 v141, v142, v141
	v_fma_f32 v144, 0xbe8c1d8e, v157, -v214
	v_dual_fmamk_f32 v214, v149, 0xbf1a4643, v180 :: v_dual_add_f32 v143, v243, v143
	v_mul_f32_e32 v146, 0x3dbcf732, v162
	v_mul_f32_e32 v145, 0xbf7ee86f, v168
	s_delay_alu instid0(VALU_DEP_4) | instskip(SKIP_3) | instid1(VALU_DEP_2)
	v_add_f32_e32 v139, v144, v139
	v_fma_f32 v144, 0xbf1a4643, v122, -v242
	v_mul_f32_e32 v244, 0xbf06c442, v228
	v_fma_f32 v180, 0xbf1a4643, v149, -v180
	v_dual_add_f32 v139, v144, v139 :: v_dual_fmamk_f32 v142, v170, 0xbf59a7d5, v244
	v_fma_f32 v144, 0xbf59a7d5, v170, -v244
	s_delay_alu instid0(VALU_DEP_2) | instskip(NEXT) | instid1(VALU_DEP_2)
	v_add_f32_e32 v140, v142, v140
	v_dual_fmamk_f32 v142, v169, 0x3f06c442, v245 :: v_dual_add_f32 v139, v144, v139
	v_fmac_f32_e32 v245, 0xbf06c442, v169
	s_delay_alu instid0(VALU_DEP_2) | instskip(NEXT) | instid1(VALU_DEP_2)
	v_dual_add_f32 v142, v142, v141 :: v_dual_fmamk_f32 v141, v156, 0xbf7ba420, v246
	v_add_f32_e32 v143, v245, v143
	s_delay_alu instid0(VALU_DEP_2) | instskip(SKIP_1) | instid1(VALU_DEP_1)
	v_add_f32_e32 v141, v141, v140
	v_mul_f32_e32 v140, 0xbf7ba420, v232
	v_fmamk_f32 v247, v164, 0x3e3c28d5, v140
	v_fmac_f32_e32 v140, 0xbe3c28d5, v164
	s_delay_alu instid0(VALU_DEP_2) | instskip(NEXT) | instid1(VALU_DEP_2)
	v_add_f32_e32 v142, v247, v142
	v_dual_add_f32 v140, v140, v143 :: v_dual_fmamk_f32 v143, v159, 0x3dbcf732, v145
	v_fma_f32 v145, 0x3dbcf732, v159, -v145
	s_delay_alu instid0(VALU_DEP_2) | instskip(NEXT) | instid1(VALU_DEP_2)
	v_add_f32_e32 v143, v143, v219
	v_add_f32_e32 v145, v145, v221
	v_fma_f32 v144, 0xbf7ba420, v156, -v246
	s_delay_alu instid0(VALU_DEP_3) | instskip(NEXT) | instid1(VALU_DEP_2)
	v_dual_add_f32 v143, v214, v143 :: v_dual_mul_f32 v214, 0xbf1a4643, v152
	v_dual_add_f32 v139, v144, v139 :: v_dual_fmamk_f32 v144, v161, 0x3f7ee86f, v146
	s_delay_alu instid0(VALU_DEP_4) | instskip(SKIP_1) | instid1(VALU_DEP_4)
	v_add_f32_e32 v145, v180, v145
	v_fmac_f32_e32 v146, 0xbf7ee86f, v161
	v_fmamk_f32 v216, v150, 0x3f4c4adb, v214
	s_delay_alu instid0(VALU_DEP_4) | instskip(NEXT) | instid1(VALU_DEP_3)
	v_add_f32_e32 v144, v144, v220
	v_add_f32_e32 v146, v146, v222
	s_delay_alu instid0(VALU_DEP_2) | instskip(SKIP_1) | instid1(VALU_DEP_1)
	v_add_f32_e32 v144, v216, v144
	v_mul_f32_e32 v216, 0xbe3c28d5, v230
	v_fmamk_f32 v217, v165, 0xbf7ba420, v216
	s_delay_alu instid0(VALU_DEP_1) | instskip(SKIP_2) | instid1(VALU_DEP_2)
	v_add_f32_e32 v143, v217, v143
	v_mul_f32_e32 v217, 0xbf7ba420, v171
	v_fmac_f32_e32 v214, 0xbf4c4adb, v150
	v_fmamk_f32 v218, v166, 0x3e3c28d5, v217
	s_delay_alu instid0(VALU_DEP_2) | instskip(NEXT) | instid1(VALU_DEP_2)
	v_add_f32_e32 v146, v214, v146
	v_add_f32_e32 v144, v218, v144
	v_mul_f32_e32 v218, 0x3f06c442, v167
	s_delay_alu instid0(VALU_DEP_1) | instskip(NEXT) | instid1(VALU_DEP_1)
	v_fmamk_f32 v219, v157, 0xbf59a7d5, v218
	v_add_f32_e32 v143, v219, v143
	v_mul_f32_e32 v219, 0xbf59a7d5, v160
	s_delay_alu instid0(VALU_DEP_1) | instskip(NEXT) | instid1(VALU_DEP_1)
	v_fmamk_f32 v220, v158, 0xbf06c442, v219
	v_add_f32_e32 v144, v220, v144
	v_mul_f32_e32 v220, 0x3f763a35, v226
	v_fmac_f32_e32 v217, 0xbe3c28d5, v166
	s_delay_alu instid0(VALU_DEP_2) | instskip(NEXT) | instid1(VALU_DEP_1)
	v_fmamk_f32 v242, v122, 0xbe8c1d8e, v220
	v_dual_add_f32 v146, v217, v146 :: v_dual_add_f32 v143, v242, v143
	v_mul_f32_e32 v242, 0xbe8c1d8e, v229
	s_delay_alu instid0(VALU_DEP_1) | instskip(NEXT) | instid1(VALU_DEP_1)
	v_fmamk_f32 v243, v227, 0xbf763a35, v242
	v_add_f32_e32 v144, v243, v144
	v_mul_f32_e32 v243, 0x3f65296c, v228
	s_delay_alu instid0(VALU_DEP_1) | instskip(NEXT) | instid1(VALU_DEP_1)
	v_fmamk_f32 v244, v170, 0x3ee437d1, v243
	v_dual_add_f32 v143, v244, v143 :: v_dual_mul_f32 v244, 0x3ee437d1, v172
	s_delay_alu instid0(VALU_DEP_1) | instskip(NEXT) | instid1(VALU_DEP_1)
	v_fmamk_f32 v245, v169, 0xbf65296c, v244
	v_dual_add_f32 v144, v245, v144 :: v_dual_mul_f32 v245, 0x3eb8f4ab, v231
	s_delay_alu instid0(VALU_DEP_1) | instskip(NEXT) | instid1(VALU_DEP_1)
	v_fmamk_f32 v246, v156, 0x3f6eb680, v245
	v_add_f32_e32 v143, v246, v143
	v_fma_f32 v180, 0xbf7ba420, v165, -v216
	s_delay_alu instid0(VALU_DEP_1) | instskip(SKIP_2) | instid1(VALU_DEP_3)
	v_dual_mul_f32 v216, 0xbf1a4643, v162 :: v_dual_add_f32 v145, v180, v145
	v_fma_f32 v180, 0xbf59a7d5, v157, -v218
	v_mul_f32_e32 v218, 0x3e3c28d5, v163
	v_fmamk_f32 v217, v161, 0x3f4c4adb, v216
	v_fmac_f32_e32 v216, 0xbf4c4adb, v161
	s_delay_alu instid0(VALU_DEP_4) | instskip(SKIP_1) | instid1(VALU_DEP_4)
	v_add_f32_e32 v145, v180, v145
	v_fma_f32 v180, 0xbe8c1d8e, v122, -v220
	v_add_f32_e32 v217, v217, v224
	s_delay_alu instid0(VALU_DEP_4) | instskip(NEXT) | instid1(VALU_DEP_3)
	v_add_f32_e32 v175, v216, v175
	v_add_f32_e32 v145, v180, v145
	v_fma_f32 v180, 0x3ee437d1, v170, -v243
	s_delay_alu instid0(VALU_DEP_1) | instskip(SKIP_2) | instid1(VALU_DEP_2)
	v_add_f32_e32 v145, v180, v145
	v_fma_f32 v180, 0x3f6eb680, v156, -v245
	v_mul_f32_e32 v245, 0xbf7ee86f, v228
	v_dual_add_f32 v145, v180, v145 :: v_dual_mul_f32 v180, 0xbf4c4adb, v168
	s_delay_alu instid0(VALU_DEP_1) | instskip(SKIP_1) | instid1(VALU_DEP_2)
	v_fmamk_f32 v214, v159, 0xbf1a4643, v180
	v_fma_f32 v180, 0xbf1a4643, v159, -v180
	v_dual_fmac_f32 v219, 0x3f06c442, v158 :: v_dual_add_f32 v214, v214, v223
	s_delay_alu instid0(VALU_DEP_2) | instskip(NEXT) | instid1(VALU_DEP_2)
	v_add_f32_e32 v180, v180, v187
	v_dual_add_f32 v146, v219, v146 :: v_dual_fmamk_f32 v219, v149, 0xbf7ba420, v218
	s_delay_alu instid0(VALU_DEP_1) | instskip(NEXT) | instid1(VALU_DEP_1)
	v_dual_add_f32 v214, v219, v214 :: v_dual_mul_f32 v219, 0xbf7ba420, v152
	v_fmamk_f32 v220, v150, 0xbe3c28d5, v219
	v_fmac_f32_e32 v219, 0x3e3c28d5, v150
	v_fma_f32 v187, 0xbf7ba420, v149, -v218
	s_delay_alu instid0(VALU_DEP_3) | instskip(NEXT) | instid1(VALU_DEP_3)
	v_dual_add_f32 v217, v220, v217 :: v_dual_mul_f32 v220, 0x3f763a35, v230
	v_dual_fmac_f32 v244, 0x3f65296c, v169 :: v_dual_add_f32 v175, v219, v175
	s_delay_alu instid0(VALU_DEP_2) | instskip(SKIP_1) | instid1(VALU_DEP_2)
	v_fmamk_f32 v221, v165, 0xbe8c1d8e, v220
	v_fmac_f32_e32 v242, 0x3f763a35, v227
	v_dual_add_f32 v214, v221, v214 :: v_dual_mul_f32 v221, 0xbe8c1d8e, v171
	s_delay_alu instid0(VALU_DEP_2) | instskip(SKIP_1) | instid1(VALU_DEP_3)
	v_add_f32_e32 v146, v242, v146
	v_add_f32_e32 v180, v187, v180
	v_fmamk_f32 v222, v166, 0xbf763a35, v221
	s_delay_alu instid0(VALU_DEP_3) | instskip(SKIP_2) | instid1(VALU_DEP_4)
	v_add_f32_e32 v146, v244, v146
	v_mul_f32_e32 v244, 0x3f6eb680, v229
	v_fmac_f32_e32 v221, 0x3f763a35, v166
	v_dual_add_f32 v217, v222, v217 :: v_dual_mul_f32 v222, 0x3f2c7751, v167
	s_delay_alu instid0(VALU_DEP_2) | instskip(NEXT) | instid1(VALU_DEP_2)
	v_add_f32_e32 v175, v221, v175
	v_fmamk_f32 v223, v157, 0x3f3d2fb0, v222
	s_delay_alu instid0(VALU_DEP_1) | instskip(NEXT) | instid1(VALU_DEP_1)
	v_dual_add_f32 v214, v223, v214 :: v_dual_mul_f32 v223, 0x3f3d2fb0, v160
	v_fmamk_f32 v224, v158, 0xbf2c7751, v223
	s_delay_alu instid0(VALU_DEP_1) | instskip(NEXT) | instid1(VALU_DEP_1)
	v_dual_mul_f32 v246, 0x3f6eb680, v232 :: v_dual_add_f32 v217, v224, v217
	v_dual_fmamk_f32 v247, v164, 0xbeb8f4ab, v246 :: v_dual_mul_f32 v224, 0xbeb8f4ab, v226
	s_delay_alu instid0(VALU_DEP_1) | instskip(NEXT) | instid1(VALU_DEP_2)
	v_add_f32_e32 v144, v247, v144
	v_fmamk_f32 v242, v122, 0x3f6eb680, v224
	s_delay_alu instid0(VALU_DEP_1) | instskip(SKIP_1) | instid1(VALU_DEP_1)
	v_dual_mul_f32 v247, 0xbf06c442, v231 :: v_dual_add_f32 v214, v242, v214
	v_fmamk_f32 v242, v227, 0x3eb8f4ab, v244
	v_dual_fmac_f32 v244, 0xbeb8f4ab, v227 :: v_dual_add_f32 v217, v242, v217
	v_fmamk_f32 v242, v170, 0x3dbcf732, v245
	v_fmac_f32_e32 v246, 0x3eb8f4ab, v164
	s_delay_alu instid0(VALU_DEP_2) | instskip(SKIP_1) | instid1(VALU_DEP_3)
	v_add_f32_e32 v214, v242, v214
	v_fmac_f32_e32 v223, 0x3f2c7751, v158
	v_add_f32_e32 v146, v246, v146
	s_delay_alu instid0(VALU_DEP_2) | instskip(NEXT) | instid1(VALU_DEP_1)
	v_dual_mul_f32 v246, 0x3dbcf732, v172 :: v_dual_add_f32 v175, v223, v175
	v_fmamk_f32 v242, v169, 0x3f7ee86f, v246
	s_delay_alu instid0(VALU_DEP_2) | instskip(NEXT) | instid1(VALU_DEP_2)
	v_dual_fmac_f32 v246, 0xbf7ee86f, v169 :: v_dual_add_f32 v175, v244, v175
	v_dual_add_f32 v217, v242, v217 :: v_dual_fmamk_f32 v242, v156, 0xbf59a7d5, v247
	s_delay_alu instid0(VALU_DEP_2) | instskip(SKIP_1) | instid1(VALU_DEP_3)
	v_add_f32_e32 v175, v246, v175
	v_fma_f32 v187, 0xbe8c1d8e, v165, -v220
	v_add_f32_e32 v242, v242, v214
	v_mul_f32_e32 v214, 0xbf59a7d5, v232
	s_delay_alu instid0(VALU_DEP_3) | instskip(SKIP_1) | instid1(VALU_DEP_3)
	v_add_f32_e32 v180, v187, v180
	v_fma_f32 v187, 0x3f3d2fb0, v157, -v222
	v_fmamk_f32 v243, v164, 0x3f06c442, v214
	v_fmac_f32_e32 v214, 0xbf06c442, v164
	s_delay_alu instid0(VALU_DEP_3) | instskip(SKIP_1) | instid1(VALU_DEP_4)
	v_add_f32_e32 v180, v187, v180
	v_fma_f32 v187, 0x3f6eb680, v122, -v224
	v_add_f32_e32 v243, v243, v217
	s_delay_alu instid0(VALU_DEP_2) | instskip(SKIP_4) | instid1(VALU_DEP_4)
	v_add_f32_e32 v180, v187, v180
	v_fma_f32 v187, 0x3dbcf732, v170, -v245
	v_add_f32_e32 v245, v214, v175
	v_mul_f32_e32 v175, 0xbe3c28d5, v168
	v_mul_f32_e32 v214, 0x3f763a35, v163
	v_add_f32_e32 v180, v187, v180
	v_fma_f32 v187, 0xbf59a7d5, v156, -v247
	s_delay_alu instid0(VALU_DEP_3) | instskip(NEXT) | instid1(VALU_DEP_2)
	v_fmamk_f32 v216, v149, 0xbe8c1d8e, v214
	v_add_f32_e32 v244, v187, v180
	v_fmamk_f32 v180, v159, 0xbf7ba420, v175
	s_delay_alu instid0(VALU_DEP_1) | instskip(SKIP_1) | instid1(VALU_DEP_1)
	v_add_f32_e32 v176, v180, v176
	v_mul_f32_e32 v180, 0xbf7ba420, v162
	v_dual_add_f32 v176, v216, v176 :: v_dual_fmamk_f32 v187, v161, 0x3e3c28d5, v180
	v_mul_f32_e32 v216, 0xbe8c1d8e, v152
	v_fmac_f32_e32 v180, 0xbe3c28d5, v161
	v_fma_f32 v175, 0xbf7ba420, v159, -v175
	s_delay_alu instid0(VALU_DEP_4) | instskip(NEXT) | instid1(VALU_DEP_4)
	v_add_f32_e32 v187, v187, v248
	v_fmamk_f32 v217, v150, 0xbf763a35, v216
	s_delay_alu instid0(VALU_DEP_3) | instskip(SKIP_1) | instid1(VALU_DEP_3)
	v_dual_fmac_f32 v216, 0x3f763a35, v150 :: v_dual_add_f32 v175, v175, v177
	v_dual_add_f32 v177, v180, v178 :: v_dual_mul_f32 v248, 0x3f2c7751, v231
	v_add_f32_e32 v187, v217, v187
	v_mul_f32_e32 v217, 0x3eb8f4ab, v230
	s_delay_alu instid0(VALU_DEP_1) | instskip(NEXT) | instid1(VALU_DEP_1)
	v_dual_add_f32 v177, v216, v177 :: v_dual_fmamk_f32 v218, v165, 0x3f6eb680, v217
	v_add_f32_e32 v176, v218, v176
	v_mul_f32_e32 v218, 0x3f6eb680, v171
	s_delay_alu instid0(VALU_DEP_1) | instskip(NEXT) | instid1(VALU_DEP_1)
	v_fmamk_f32 v219, v166, 0xbeb8f4ab, v218
	v_dual_fmac_f32 v218, 0x3eb8f4ab, v166 :: v_dual_add_f32 v187, v219, v187
	v_mul_f32_e32 v219, 0xbf65296c, v167
	s_delay_alu instid0(VALU_DEP_1) | instskip(NEXT) | instid1(VALU_DEP_1)
	v_dual_add_f32 v177, v218, v177 :: v_dual_fmamk_f32 v220, v157, 0x3ee437d1, v219
	v_add_f32_e32 v176, v220, v176
	v_mul_f32_e32 v220, 0x3ee437d1, v160
	s_delay_alu instid0(VALU_DEP_1) | instskip(NEXT) | instid1(VALU_DEP_1)
	v_fmamk_f32 v221, v158, 0x3f65296c, v220
	v_dual_fmac_f32 v220, 0xbf65296c, v158 :: v_dual_add_f32 v187, v221, v187
	v_mul_f32_e32 v221, 0xbf06c442, v226
	s_delay_alu instid0(VALU_DEP_2) | instskip(SKIP_1) | instid1(VALU_DEP_3)
	v_add_f32_e32 v177, v220, v177
	v_fma_f32 v178, 0xbe8c1d8e, v149, -v214
	v_fmamk_f32 v222, v122, 0xbf59a7d5, v221
	s_delay_alu instid0(VALU_DEP_2) | instskip(SKIP_1) | instid1(VALU_DEP_3)
	v_add_f32_e32 v175, v178, v175
	v_fma_f32 v178, 0x3f6eb680, v165, -v217
	v_add_f32_e32 v176, v222, v176
	s_delay_alu instid0(VALU_DEP_2) | instskip(SKIP_1) | instid1(VALU_DEP_2)
	v_dual_mul_f32 v222, 0xbf59a7d5, v229 :: v_dual_add_f32 v175, v178, v175
	v_fma_f32 v178, 0x3ee437d1, v157, -v219
	v_fmamk_f32 v223, v227, 0x3f06c442, v222
	v_fmac_f32_e32 v222, 0xbf06c442, v227
	s_delay_alu instid0(VALU_DEP_3) | instskip(SKIP_1) | instid1(VALU_DEP_4)
	v_add_f32_e32 v175, v178, v175
	v_fma_f32 v178, 0xbf59a7d5, v122, -v221
	v_add_f32_e32 v187, v223, v187
	v_mul_f32_e32 v223, 0x3f4c4adb, v228
	v_add_f32_e32 v177, v222, v177
	s_delay_alu instid0(VALU_DEP_4) | instskip(NEXT) | instid1(VALU_DEP_3)
	v_add_f32_e32 v175, v178, v175
	v_fmamk_f32 v224, v170, 0xbf1a4643, v223
	s_delay_alu instid0(VALU_DEP_1) | instskip(SKIP_1) | instid1(VALU_DEP_1)
	v_add_f32_e32 v176, v224, v176
	v_mul_f32_e32 v224, 0xbf1a4643, v172
	v_fmamk_f32 v246, v169, 0xbf4c4adb, v224
	v_fmac_f32_e32 v224, 0x3f4c4adb, v169
	v_fma_f32 v178, 0xbf1a4643, v170, -v223
	s_delay_alu instid0(VALU_DEP_3) | instskip(NEXT) | instid1(VALU_DEP_2)
	v_dual_add_f32 v187, v246, v187 :: v_dual_fmamk_f32 v246, v156, 0x3f3d2fb0, v248
	v_add_f32_e32 v175, v178, v175
	v_fma_f32 v178, 0x3f3d2fb0, v156, -v248
	s_delay_alu instid0(VALU_DEP_3) | instskip(SKIP_1) | instid1(VALU_DEP_3)
	v_dual_add_f32 v177, v224, v177 :: v_dual_add_f32 v246, v246, v176
	v_mul_f32_e32 v176, 0x3f3d2fb0, v232
	v_dual_add_f32 v248, v178, v175 :: v_dual_mul_f32 v175, 0x3f06c442, v168
	s_delay_alu instid0(VALU_DEP_2) | instskip(NEXT) | instid1(VALU_DEP_1)
	v_fmamk_f32 v247, v164, 0xbf2c7751, v176
	v_dual_fmac_f32 v176, 0x3f2c7751, v164 :: v_dual_add_f32 v247, v247, v187
	s_delay_alu instid0(VALU_DEP_1) | instskip(SKIP_2) | instid1(VALU_DEP_3)
	v_dual_add_f32 v249, v176, v177 :: v_dual_fmamk_f32 v176, v159, 0xbf59a7d5, v175
	v_mul_f32_e32 v177, 0xbf59a7d5, v162
	v_fma_f32 v175, 0xbf59a7d5, v159, -v175
	v_add_f32_e32 v176, v176, v179
	v_mul_f32_e32 v179, 0x3f2c7751, v163
	s_delay_alu instid0(VALU_DEP_4) | instskip(SKIP_1) | instid1(VALU_DEP_3)
	v_fmamk_f32 v178, v161, 0xbf06c442, v177
	v_fmac_f32_e32 v177, 0x3f06c442, v161
	v_dual_add_f32 v175, v175, v240 :: v_dual_fmamk_f32 v180, v149, 0x3f3d2fb0, v179
	s_delay_alu instid0(VALU_DEP_2) | instskip(NEXT) | instid1(VALU_DEP_2)
	v_dual_add_f32 v178, v178, v241 :: v_dual_add_f32 v177, v177, v239
	v_add_f32_e32 v176, v180, v176
	v_mul_f32_e32 v180, 0x3f3d2fb0, v152
	s_delay_alu instid0(VALU_DEP_1) | instskip(SKIP_1) | instid1(VALU_DEP_2)
	v_fmamk_f32 v187, v150, 0xbf2c7751, v180
	v_fmac_f32_e32 v180, 0x3f2c7751, v150
	v_add_f32_e32 v178, v187, v178
	v_mul_f32_e32 v187, 0xbf65296c, v230
	s_delay_alu instid0(VALU_DEP_1) | instskip(NEXT) | instid1(VALU_DEP_1)
	v_dual_add_f32 v177, v180, v177 :: v_dual_fmamk_f32 v214, v165, 0x3ee437d1, v187
	v_add_f32_e32 v176, v214, v176
	v_mul_f32_e32 v214, 0x3ee437d1, v171
	s_delay_alu instid0(VALU_DEP_1) | instskip(SKIP_1) | instid1(VALU_DEP_2)
	v_fmamk_f32 v216, v166, 0x3f65296c, v214
	v_fmac_f32_e32 v214, 0xbf65296c, v166
	v_add_f32_e32 v178, v216, v178
	s_delay_alu instid0(VALU_DEP_2) | instskip(NEXT) | instid1(VALU_DEP_1)
	v_dual_mul_f32 v216, 0xbe3c28d5, v167 :: v_dual_add_f32 v177, v214, v177
	v_fmamk_f32 v217, v157, 0xbf7ba420, v216
	s_delay_alu instid0(VALU_DEP_1) | instskip(SKIP_1) | instid1(VALU_DEP_1)
	v_add_f32_e32 v176, v217, v176
	v_mul_f32_e32 v217, 0xbf7ba420, v160
	v_fmamk_f32 v218, v158, 0x3e3c28d5, v217
	v_fmac_f32_e32 v217, 0xbe3c28d5, v158
	s_delay_alu instid0(VALU_DEP_2) | instskip(NEXT) | instid1(VALU_DEP_2)
	v_add_f32_e32 v178, v218, v178
	v_dual_mul_f32 v218, 0x3f7ee86f, v226 :: v_dual_add_f32 v177, v217, v177
	s_delay_alu instid0(VALU_DEP_1) | instskip(NEXT) | instid1(VALU_DEP_1)
	v_fmamk_f32 v219, v122, 0x3dbcf732, v218
	v_dual_add_f32 v176, v219, v176 :: v_dual_mul_f32 v219, 0x3dbcf732, v229
	s_delay_alu instid0(VALU_DEP_1) | instskip(NEXT) | instid1(VALU_DEP_1)
	v_fmamk_f32 v220, v227, 0xbf7ee86f, v219
	v_dual_fmac_f32 v219, 0x3f7ee86f, v227 :: v_dual_add_f32 v178, v220, v178
	s_delay_alu instid0(VALU_DEP_1) | instskip(NEXT) | instid1(VALU_DEP_1)
	v_dual_mul_f32 v220, 0xbeb8f4ab, v228 :: v_dual_add_f32 v177, v219, v177
	v_fmamk_f32 v221, v170, 0x3f6eb680, v220
	s_delay_alu instid0(VALU_DEP_1) | instskip(SKIP_1) | instid1(VALU_DEP_1)
	v_add_f32_e32 v176, v221, v176
	v_mul_f32_e32 v221, 0x3f6eb680, v172
	v_fmamk_f32 v222, v169, 0x3eb8f4ab, v221
	s_delay_alu instid0(VALU_DEP_1) | instskip(NEXT) | instid1(VALU_DEP_1)
	v_dual_fmac_f32 v221, 0xbeb8f4ab, v169 :: v_dual_add_f32 v178, v222, v178
	v_dual_mul_f32 v222, 0xbf4c4adb, v231 :: v_dual_add_f32 v177, v221, v177
	s_delay_alu instid0(VALU_DEP_1) | instskip(NEXT) | instid1(VALU_DEP_1)
	v_fmamk_f32 v223, v156, 0xbf1a4643, v222
	v_add_f32_e32 v250, v223, v176
	v_mul_f32_e32 v176, 0xbf1a4643, v232
	s_delay_alu instid0(VALU_DEP_1) | instskip(NEXT) | instid1(VALU_DEP_1)
	v_fmamk_f32 v223, v164, 0x3f4c4adb, v176
	v_dual_fmac_f32 v176, 0xbf4c4adb, v164 :: v_dual_add_f32 v251, v223, v178
	v_fma_f32 v178, 0x3f3d2fb0, v149, -v179
	s_delay_alu instid0(VALU_DEP_2) | instskip(SKIP_1) | instid1(VALU_DEP_3)
	v_dual_mul_f32 v179, 0xbeb8f4ab, v163 :: v_dual_add_f32 v240, v176, v177
	v_mul_f32_e32 v177, 0xbe8c1d8e, v162
	v_add_f32_e32 v175, v178, v175
	v_fma_f32 v178, 0x3ee437d1, v165, -v187
	s_delay_alu instid0(VALU_DEP_1) | instskip(SKIP_1) | instid1(VALU_DEP_1)
	v_dual_fmamk_f32 v180, v149, 0x3f6eb680, v179 :: v_dual_add_f32 v175, v178, v175
	v_fma_f32 v178, 0xbf7ba420, v157, -v216
	v_add_f32_e32 v175, v178, v175
	v_fma_f32 v178, 0x3dbcf732, v122, -v218
	s_delay_alu instid0(VALU_DEP_1) | instskip(SKIP_1) | instid1(VALU_DEP_1)
	v_add_f32_e32 v175, v178, v175
	v_fma_f32 v178, 0x3f6eb680, v170, -v220
	v_add_f32_e32 v175, v178, v175
	v_fma_f32 v178, 0xbf1a4643, v156, -v222
	s_delay_alu instid0(VALU_DEP_1) | instskip(SKIP_3) | instid1(VALU_DEP_3)
	v_add_f32_e32 v239, v178, v175
	v_mul_f32_e32 v175, 0x3f763a35, v168
	v_fmamk_f32 v178, v161, 0xbf763a35, v177
	v_fmac_f32_e32 v177, 0x3f763a35, v161
	v_fmamk_f32 v176, v159, 0xbe8c1d8e, v175
	s_delay_alu instid0(VALU_DEP_3) | instskip(SKIP_1) | instid1(VALU_DEP_3)
	v_add_f32_e32 v178, v178, v237
	v_fma_f32 v175, 0xbe8c1d8e, v159, -v175
	v_dual_add_f32 v177, v177, v235 :: v_dual_add_f32 v176, v176, v238
	s_delay_alu instid0(VALU_DEP_2) | instskip(NEXT) | instid1(VALU_DEP_2)
	v_add_f32_e32 v175, v175, v236
	v_add_f32_e32 v176, v180, v176
	v_mul_f32_e32 v180, 0x3f6eb680, v152
	s_delay_alu instid0(VALU_DEP_1) | instskip(SKIP_1) | instid1(VALU_DEP_2)
	v_fmamk_f32 v187, v150, 0x3eb8f4ab, v180
	v_fmac_f32_e32 v180, 0xbeb8f4ab, v150
	v_add_f32_e32 v178, v187, v178
	v_mul_f32_e32 v187, 0xbf06c442, v230
	s_delay_alu instid0(VALU_DEP_1) | instskip(NEXT) | instid1(VALU_DEP_1)
	v_dual_add_f32 v177, v180, v177 :: v_dual_fmamk_f32 v214, v165, 0xbf59a7d5, v187
	v_add_f32_e32 v176, v214, v176
	v_mul_f32_e32 v214, 0xbf59a7d5, v171
	s_delay_alu instid0(VALU_DEP_1) | instskip(SKIP_1) | instid1(VALU_DEP_2)
	v_fmamk_f32 v216, v166, 0x3f06c442, v214
	v_fmac_f32_e32 v214, 0xbf06c442, v166
	v_add_f32_e32 v178, v216, v178
	v_mul_f32_e32 v216, 0x3f7ee86f, v167
	s_delay_alu instid0(VALU_DEP_1) | instskip(NEXT) | instid1(VALU_DEP_1)
	v_fmamk_f32 v217, v157, 0x3dbcf732, v216
	v_add_f32_e32 v176, v217, v176
	v_mul_f32_e32 v217, 0x3dbcf732, v160
	s_delay_alu instid0(VALU_DEP_1) | instskip(SKIP_1) | instid1(VALU_DEP_2)
	v_fmamk_f32 v218, v158, 0xbf7ee86f, v217
	v_fmac_f32_e32 v217, 0x3f7ee86f, v158
	v_add_f32_e32 v178, v218, v178
	v_mul_f32_e32 v218, 0xbf2c7751, v226
	s_delay_alu instid0(VALU_DEP_1) | instskip(NEXT) | instid1(VALU_DEP_1)
	v_fmamk_f32 v219, v122, 0x3f3d2fb0, v218
	v_dual_add_f32 v176, v219, v176 :: v_dual_mul_f32 v219, 0x3f3d2fb0, v229
	s_delay_alu instid0(VALU_DEP_1) | instskip(NEXT) | instid1(VALU_DEP_1)
	v_fmamk_f32 v220, v227, 0x3f2c7751, v219
	v_dual_fmac_f32 v219, 0xbf2c7751, v227 :: v_dual_add_f32 v178, v220, v178
	v_mul_f32_e32 v220, 0xbe3c28d5, v228
	s_delay_alu instid0(VALU_DEP_1) | instskip(NEXT) | instid1(VALU_DEP_1)
	v_fmamk_f32 v221, v170, 0xbf7ba420, v220
	v_add_f32_e32 v176, v221, v176
	v_mul_f32_e32 v221, 0xbf7ba420, v172
	s_delay_alu instid0(VALU_DEP_1) | instskip(NEXT) | instid1(VALU_DEP_1)
	v_fmamk_f32 v222, v169, 0x3e3c28d5, v221
	v_dual_fmac_f32 v221, 0xbe3c28d5, v169 :: v_dual_add_f32 v178, v222, v178
	v_mul_f32_e32 v222, 0x3f65296c, v231
	s_delay_alu instid0(VALU_DEP_1) | instskip(NEXT) | instid1(VALU_DEP_1)
	v_fmamk_f32 v223, v156, 0x3ee437d1, v222
	v_add_f32_e32 v237, v223, v176
	v_mul_f32_e32 v176, 0x3ee437d1, v232
	s_delay_alu instid0(VALU_DEP_1) | instskip(SKIP_1) | instid1(VALU_DEP_2)
	v_fmamk_f32 v223, v164, 0xbf65296c, v176
	v_fmac_f32_e32 v176, 0x3f65296c, v164
	v_add_f32_e32 v238, v223, v178
	v_fma_f32 v178, 0x3f6eb680, v149, -v179
	v_mul_f32_e32 v179, 0xbf7ee86f, v163
	v_mul_f32_e32 v163, 0xbf06c442, v163
	v_add_f32_e32 v177, v214, v177
	s_delay_alu instid0(VALU_DEP_4) | instskip(SKIP_2) | instid1(VALU_DEP_4)
	v_add_f32_e32 v175, v178, v175
	v_fma_f32 v178, 0xbf59a7d5, v165, -v187
	v_fmamk_f32 v180, v149, 0x3dbcf732, v179
	v_add_f32_e32 v177, v217, v177
	s_delay_alu instid0(VALU_DEP_3) | instskip(SKIP_1) | instid1(VALU_DEP_3)
	v_add_f32_e32 v175, v178, v175
	v_fma_f32 v178, 0x3dbcf732, v157, -v216
	v_add_f32_e32 v177, v219, v177
	s_delay_alu instid0(VALU_DEP_2) | instskip(SKIP_1) | instid1(VALU_DEP_3)
	v_add_f32_e32 v175, v178, v175
	v_fma_f32 v178, 0x3f3d2fb0, v122, -v218
	v_add_f32_e32 v177, v221, v177
	s_delay_alu instid0(VALU_DEP_2) | instskip(SKIP_1) | instid1(VALU_DEP_3)
	v_add_f32_e32 v175, v178, v175
	v_fma_f32 v178, 0xbf7ba420, v170, -v220
	v_dual_add_f32 v236, v176, v177 :: v_dual_mul_f32 v177, 0x3ee437d1, v162
	s_delay_alu instid0(VALU_DEP_2) | instskip(SKIP_1) | instid1(VALU_DEP_1)
	v_dual_mul_f32 v162, 0x3f6eb680, v162 :: v_dual_add_f32 v175, v178, v175
	v_fma_f32 v178, 0x3ee437d1, v156, -v222
	v_add_f32_e32 v235, v178, v175
	v_mul_f32_e32 v175, 0x3f65296c, v168
	v_fmamk_f32 v178, v161, 0xbf65296c, v177
	v_mul_f32_e32 v168, 0x3eb8f4ab, v168
	v_fmac_f32_e32 v177, 0x3f65296c, v161
	s_delay_alu instid0(VALU_DEP_4) | instskip(NEXT) | instid1(VALU_DEP_4)
	v_fmamk_f32 v176, v159, 0x3ee437d1, v175
	v_add_f32_e32 v178, v178, v233
	v_fma_f32 v175, 0x3ee437d1, v159, -v175
	s_delay_alu instid0(VALU_DEP_4) | instskip(NEXT) | instid1(VALU_DEP_2)
	v_add_f32_e32 v154, v177, v154
	v_dual_add_f32 v176, v176, v234 :: v_dual_add_f32 v155, v175, v155
	v_fma_f32 v175, 0x3dbcf732, v149, -v179
	s_delay_alu instid0(VALU_DEP_2) | instskip(SKIP_1) | instid1(VALU_DEP_3)
	v_add_f32_e32 v176, v180, v176
	v_mul_f32_e32 v180, 0x3dbcf732, v152
	v_dual_mul_f32 v152, 0xbf59a7d5, v152 :: v_dual_add_f32 v155, v175, v155
	s_delay_alu instid0(VALU_DEP_2) | instskip(NEXT) | instid1(VALU_DEP_1)
	v_fmamk_f32 v187, v150, 0x3f7ee86f, v180
	v_add_f32_e32 v178, v187, v178
	v_mul_f32_e32 v187, 0x3f4c4adb, v230
	s_delay_alu instid0(VALU_DEP_1) | instskip(SKIP_1) | instid1(VALU_DEP_2)
	v_fmamk_f32 v214, v165, 0xbf1a4643, v187
	v_fma_f32 v175, 0xbf1a4643, v165, -v187
	v_add_f32_e32 v176, v214, v176
	v_mul_f32_e32 v214, 0xbf1a4643, v171
	s_delay_alu instid0(VALU_DEP_3) | instskip(SKIP_1) | instid1(VALU_DEP_3)
	v_add_f32_e32 v155, v175, v155
	v_mul_f32_e32 v171, 0x3f3d2fb0, v171
	v_fmamk_f32 v216, v166, 0xbf4c4adb, v214
	s_delay_alu instid0(VALU_DEP_1) | instskip(SKIP_1) | instid1(VALU_DEP_1)
	v_add_f32_e32 v178, v216, v178
	v_mul_f32_e32 v216, 0xbeb8f4ab, v167
	v_fmamk_f32 v217, v157, 0x3f6eb680, v216
	v_fma_f32 v175, 0x3f6eb680, v157, -v216
	s_delay_alu instid0(VALU_DEP_2) | instskip(SKIP_1) | instid1(VALU_DEP_1)
	v_add_f32_e32 v176, v217, v176
	v_mul_f32_e32 v217, 0x3f6eb680, v160
	v_dual_add_f32 v155, v175, v155 :: v_dual_fmamk_f32 v218, v158, 0x3eb8f4ab, v217
	v_fmac_f32_e32 v217, 0xbeb8f4ab, v158
	s_delay_alu instid0(VALU_DEP_2) | instskip(SKIP_1) | instid1(VALU_DEP_1)
	v_add_f32_e32 v178, v218, v178
	v_mul_f32_e32 v218, 0xbe3c28d5, v226
	v_fmamk_f32 v219, v122, 0xbf7ba420, v218
	v_fma_f32 v175, 0xbf7ba420, v122, -v218
	s_delay_alu instid0(VALU_DEP_2) | instskip(NEXT) | instid1(VALU_DEP_2)
	v_dual_add_f32 v176, v219, v176 :: v_dual_mul_f32 v219, 0xbf7ba420, v229
	v_add_f32_e32 v155, v175, v155
	s_delay_alu instid0(VALU_DEP_2) | instskip(NEXT) | instid1(VALU_DEP_1)
	v_fmamk_f32 v220, v227, 0x3e3c28d5, v219
	v_dual_fmac_f32 v219, 0xbe3c28d5, v227 :: v_dual_add_f32 v178, v220, v178
	v_mul_f32_e32 v220, 0x3f2c7751, v228
	s_delay_alu instid0(VALU_DEP_1) | instskip(NEXT) | instid1(VALU_DEP_1)
	v_fma_f32 v175, 0x3f3d2fb0, v170, -v220
	v_add_f32_e32 v155, v175, v155
	v_fmamk_f32 v175, v159, 0x3f6eb680, v168
	v_fma_f32 v159, 0x3f6eb680, v159, -v168
	s_delay_alu instid0(VALU_DEP_2) | instskip(SKIP_1) | instid1(VALU_DEP_3)
	v_add_f32_e32 v153, v175, v153
	v_fmamk_f32 v175, v161, 0xbeb8f4ab, v162
	v_dual_fmac_f32 v162, 0x3eb8f4ab, v161 :: v_dual_add_f32 v147, v159, v147
	v_mul_f32_e32 v161, 0xbf4c4adb, v167
	s_delay_alu instid0(VALU_DEP_3) | instskip(SKIP_2) | instid1(VALU_DEP_4)
	v_add_f32_e32 v151, v175, v151
	v_fmamk_f32 v175, v149, 0xbf59a7d5, v163
	v_fma_f32 v149, 0xbf59a7d5, v149, -v163
	v_dual_add_f32 v148, v162, v148 :: v_dual_fmamk_f32 v167, v157, 0xbf1a4643, v161
	s_delay_alu instid0(VALU_DEP_3) | instskip(SKIP_1) | instid1(VALU_DEP_4)
	v_add_f32_e32 v153, v175, v153
	v_fmamk_f32 v175, v150, 0x3f06c442, v152
	v_dual_fmac_f32 v152, 0xbf06c442, v150 :: v_dual_add_f32 v147, v149, v147
	s_delay_alu instid0(VALU_DEP_2) | instskip(NEXT) | instid1(VALU_DEP_2)
	v_add_f32_e32 v151, v175, v151
	v_dual_mul_f32 v175, 0x3f2c7751, v230 :: v_dual_add_f32 v148, v152, v148
	v_mul_f32_e32 v152, 0x3f65296c, v226
	s_delay_alu instid0(VALU_DEP_2) | instskip(SKIP_1) | instid1(VALU_DEP_2)
	v_fmamk_f32 v177, v165, 0x3f3d2fb0, v175
	v_fma_f32 v149, 0x3f3d2fb0, v165, -v175
	v_add_f32_e32 v153, v177, v153
	v_fmamk_f32 v177, v166, 0xbf2c7751, v171
	v_fmac_f32_e32 v171, 0x3f2c7751, v166
	v_fmamk_f32 v221, v170, 0x3f3d2fb0, v220
	v_add_f32_e32 v147, v149, v147
	v_fma_f32 v149, 0xbf1a4643, v157, -v161
	v_dual_add_f32 v151, v177, v151 :: v_dual_fmac_f32 v180, 0xbf7ee86f, v150
	v_mul_f32_e32 v150, 0xbf1a4643, v160
	v_add_f32_e32 v176, v221, v176
	v_mul_f32_e32 v221, 0x3f3d2fb0, v172
	v_add_f32_e32 v153, v167, v153
	v_add_f32_e32 v147, v149, v147
	v_dual_fmamk_f32 v159, v158, 0x3f4c4adb, v150 :: v_dual_add_f32 v154, v180, v154
	v_mul_f32_e32 v157, 0x3ee437d1, v229
	v_fmac_f32_e32 v150, 0xbf4c4adb, v158
	v_mul_f32_e32 v149, 0xbf763a35, v228
	s_delay_alu instid0(VALU_DEP_4) | instskip(SKIP_4) | instid1(VALU_DEP_4)
	v_add_f32_e32 v151, v159, v151
	v_fmamk_f32 v159, v122, 0x3ee437d1, v152
	v_fmamk_f32 v222, v169, 0xbf2c7751, v221
	;; [unrolled: 1-line block ×3, first 2 shown]
	v_fma_f32 v122, 0x3ee437d1, v122, -v152
	v_dual_mul_f32 v152, 0xbe8c1d8e, v172 :: v_dual_add_f32 v153, v159, v153
	s_delay_alu instid0(VALU_DEP_4) | instskip(SKIP_4) | instid1(VALU_DEP_4)
	v_add_f32_e32 v178, v222, v178
	v_mul_f32_e32 v222, 0xbf763a35, v231
	v_add_f32_e32 v151, v158, v151
	v_add_f32_e32 v122, v122, v147
	v_mul_f32_e32 v158, 0x3dbcf732, v232
	v_dual_add_f32 v148, v171, v148 :: v_dual_fmamk_f32 v223, v156, 0xbe8c1d8e, v222
	v_fma_f32 v147, 0xbe8c1d8e, v156, -v222
	v_fmac_f32_e32 v214, 0x3f4c4adb, v166
	v_fmac_f32_e32 v157, 0x3f65296c, v227
	;; [unrolled: 1-line block ×3, first 2 shown]
	v_add_f32_e32 v233, v223, v176
	v_dual_add_f32 v147, v147, v155 :: v_dual_mul_f32 v176, 0xbe8c1d8e, v232
	v_dual_add_f32 v154, v214, v154 :: v_dual_fmamk_f32 v155, v164, 0xbf7ee86f, v158
	v_add_f32_e32 v148, v150, v148
	v_fmamk_f32 v150, v170, 0xbe8c1d8e, v149
	s_delay_alu instid0(VALU_DEP_4)
	v_fmamk_f32 v223, v164, 0x3f763a35, v176
	v_fma_f32 v149, 0xbe8c1d8e, v170, -v149
	v_fmac_f32_e32 v158, 0x3f7ee86f, v164
	v_add_f32_e32 v148, v157, v148
	v_dual_add_f32 v150, v150, v153 :: v_dual_fmamk_f32 v153, v169, 0x3f763a35, v152
	v_add_f32_e32 v234, v223, v178
	v_dual_add_f32 v154, v217, v154 :: v_dual_mul_f32 v157, 0x3f7ee86f, v231
	s_delay_alu instid0(VALU_DEP_3) | instskip(SKIP_1) | instid1(VALU_DEP_3)
	v_dual_fmac_f32 v152, 0xbf763a35, v169 :: v_dual_add_f32 v151, v153, v151
	v_add_f32_e32 v122, v149, v122
	v_dual_add_f32 v154, v219, v154 :: v_dual_fmamk_f32 v153, v156, 0x3dbcf732, v157
	s_delay_alu instid0(VALU_DEP_3) | instskip(SKIP_2) | instid1(VALU_DEP_4)
	v_add_f32_e32 v152, v152, v148
	v_fma_f32 v156, 0x3dbcf732, v156, -v157
	v_fmac_f32_e32 v176, 0xbf763a35, v164
	v_add_f32_e32 v154, v221, v154
	v_dual_add_f32 v149, v153, v150 :: v_dual_add_f32 v150, v155, v151
	s_delay_alu instid0(VALU_DEP_4) | instskip(NEXT) | instid1(VALU_DEP_3)
	v_dual_add_f32 v151, v156, v122 :: v_dual_add_f32 v152, v158, v152
	v_add_f32_e32 v148, v176, v154
	ds_store_2addr_b64 v215, v[116:117], v[141:142] offset1:1
	ds_store_2addr_b64 v215, v[143:144], v[242:243] offset0:2 offset1:3
	ds_store_2addr_b64 v215, v[246:247], v[250:251] offset0:4 offset1:5
	;; [unrolled: 1-line block ×7, first 2 shown]
	ds_store_b64 v215, v[139:140] offset:128
	s_and_saveexec_b32 s0, vcc_lo
	s_cbranch_execz .LBB0_13
; %bb.12:
	v_dual_add_f32 v116, v124, v119 :: v_dual_add_f32 v117, v123, v118
	v_dual_mov_b32 v54, v204 :: v_dual_add_f32 v139, v121, v138
	v_add_f32_e32 v141, v9, v132
	s_delay_alu instid0(VALU_DEP_3) | instskip(SKIP_2) | instid1(VALU_DEP_4)
	v_dual_add_f32 v116, v126, v116 :: v_dual_add_f32 v117, v125, v117
	v_mov_b32_e32 v34, v181
	v_mov_b32_e32 v36, v183
	v_mul_f32_e32 v20, 0xbf59a7d5, v141
	s_delay_alu instid0(VALU_DEP_4) | instskip(SKIP_2) | instid1(VALU_DEP_3)
	v_dual_add_f32 v116, v128, v116 :: v_dual_add_f32 v117, v127, v117
	v_dual_mov_b32 v37, v184 :: v_dual_mov_b32 v46, v195
	v_mov_b32_e32 v35, v182
	v_dual_add_f32 v116, v134, v116 :: v_dual_add_f32 v117, v133, v117
	v_mov_b32_e32 v170, v73
	v_dual_mov_b32 v38, v185 :: v_dual_mov_b32 v39, v186
	s_delay_alu instid0(VALU_DEP_3) | instskip(SKIP_2) | instid1(VALU_DEP_3)
	v_dual_add_f32 v116, v136, v116 :: v_dual_add_f32 v117, v135, v117
	v_mov_b32_e32 v169, v72
	v_mov_b32_e32 v45, v194
	v_dual_mov_b32 v55, v205 :: v_dual_add_f32 v116, v130, v116
	s_delay_alu instid0(VALU_DEP_4) | instskip(SKIP_1) | instid1(VALU_DEP_3)
	v_add_f32_e32 v117, v129, v117
	v_mov_b32_e32 v47, v196
	v_dual_mul_f32 v15, 0x3ee437d1, v141 :: v_dual_add_f32 v116, v132, v116
	s_delay_alu instid0(VALU_DEP_3) | instskip(SKIP_1) | instid1(VALU_DEP_3)
	v_add_f32_e32 v117, v131, v117
	v_sub_f32_e32 v132, v132, v9
	v_add_f32_e32 v122, v138, v116
	s_delay_alu instid0(VALU_DEP_3) | instskip(SKIP_1) | instid1(VALU_DEP_3)
	v_add_f32_e32 v140, v137, v117
	v_dual_sub_f32 v117, v137, v120 :: v_dual_add_f32 v116, v120, v137
	v_dual_sub_f32 v137, v138, v121 :: v_dual_add_f32 v142, v121, v122
	v_sub_f32_e32 v138, v130, v11
	v_add_f32_e32 v121, v8, v131
	v_dual_add_f32 v143, v120, v140 :: v_dual_add_f32 v140, v11, v130
	s_delay_alu instid0(VALU_DEP_4) | instskip(SKIP_1) | instid1(VALU_DEP_3)
	v_dual_sub_f32 v120, v131, v8 :: v_dual_add_f32 v9, v9, v142
	v_add_f32_e32 v142, v5, v136
	v_add_f32_e32 v8, v8, v143
	v_dual_sub_f32 v131, v136, v5 :: v_dual_sub_f32 v122, v129, v10
	v_add_f32_e32 v129, v10, v129
	v_dual_add_f32 v130, v11, v9 :: v_dual_add_f32 v9, v4, v135
	v_add_f32_e32 v11, v6, v133
	v_add_f32_e32 v144, v10, v8
	s_delay_alu instid0(VALU_DEP_3) | instskip(SKIP_1) | instid1(VALU_DEP_3)
	v_dual_sub_f32 v8, v135, v4 :: v_dual_add_f32 v5, v5, v130
	v_sub_f32_e32 v10, v133, v6
	v_dual_add_f32 v143, v7, v134 :: v_dual_add_f32 v4, v4, v144
	v_dual_sub_f32 v134, v134, v7 :: v_dual_add_f32 v135, v1, v128
	s_delay_alu instid0(VALU_DEP_4) | instskip(SKIP_3) | instid1(VALU_DEP_4)
	v_add_f32_e32 v5, v7, v5
	v_dual_add_f32 v136, v3, v126 :: v_dual_sub_f32 v133, v126, v3
	v_sub_f32_e32 v126, v128, v1
	v_add_f32_e32 v7, v0, v127
	v_add_f32_e32 v1, v1, v5
	v_dual_sub_f32 v130, v125, v2 :: v_dual_add_f32 v125, v2, v125
	v_add_f32_e32 v4, v6, v4
	v_dual_sub_f32 v6, v127, v0 :: v_dual_sub_f32 v5, v124, v211
	s_delay_alu instid0(VALU_DEP_4) | instskip(NEXT) | instid1(VALU_DEP_3)
	v_add_f32_e32 v1, v3, v1
	v_dual_sub_f32 v3, v123, v210 :: v_dual_add_f32 v0, v0, v4
	v_mul_f32_e32 v180, 0x3ee437d1, v140
	s_delay_alu instid0(VALU_DEP_4) | instskip(SKIP_1) | instid1(VALU_DEP_4)
	v_mul_f32_e32 v158, 0xbf7ee86f, v5
	v_mul_f32_e32 v156, 0xbf4c4adb, v5
	v_dual_mul_f32 v157, 0xbf763a35, v5 :: v_dual_add_f32 v0, v2, v0
	v_add_f32_e32 v2, v211, v124
	v_add_f32_e32 v4, v210, v123
	;; [unrolled: 1-line block ×3, first 2 shown]
	v_mul_f32_e32 v178, 0x3f3d2fb0, v143
	v_mul_f32_e32 v177, 0xbf59a7d5, v135
	v_mul_f32_e32 v123, 0xbf7ba420, v2
	v_mul_f32_e32 v215, 0xbf4c4adb, v131
	v_mul_f32_e32 v179, 0xbf1a4643, v142
	v_mul_f32_e32 v221, 0x3dbcf732, v135
	v_mul_f32_e32 v187, 0x3eb8f4ab, v133
	v_fmamk_f32 v147, v3, 0x3e3c28d5, v123
	v_fmac_f32_e32 v123, 0xbe3c28d5, v3
	v_mul_f32_e32 v127, 0xbf1a4643, v2
	v_mul_f32_e32 v145, 0x3ee437d1, v2
	;; [unrolled: 1-line block ×4, first 2 shown]
	v_dual_mul_f32 v144, 0x3dbcf732, v2 :: v_dual_fmamk_f32 v165, v4, 0x3dbcf732, v158
	v_fmamk_f32 v149, v3, 0x3f4c4adb, v127
	v_fmamk_f32 v152, v3, 0x3f65296c, v145
	v_mul_f32_e32 v155, 0xbf06c442, v5
	v_dual_mul_f32 v160, 0xbf2c7751, v5 :: v_dual_add_f32 v13, v119, v123
	v_mul_f32_e32 v146, 0x3f3d2fb0, v2
	v_dual_mul_f32 v2, 0x3f6eb680, v2 :: v_dual_add_f32 v149, v119, v149
	v_fmac_f32_e32 v127, 0xbf4c4adb, v3
	v_fmamk_f32 v162, v4, 0xbf59a7d5, v155
	v_fma_f32 v155, 0xbf59a7d5, v4, -v155
	s_delay_alu instid0(VALU_DEP_4)
	v_fmamk_f32 v154, v3, 0x3eb8f4ab, v2
	v_fmac_f32_e32 v2, 0xbeb8f4ab, v3
	v_mul_f32_e32 v159, 0xbf65296c, v5
	v_fmamk_f32 v148, v3, 0x3f06c442, v124
	v_fmac_f32_e32 v145, 0xbf65296c, v3
	v_fmamk_f32 v163, v4, 0xbf1a4643, v156
	v_fma_f32 v156, 0xbf1a4643, v4, -v156
	v_fmamk_f32 v166, v4, 0x3ee437d1, v159
	v_fmamk_f32 v150, v3, 0x3f763a35, v128
	v_fmac_f32_e32 v128, 0xbf763a35, v3
	v_fmamk_f32 v164, v4, 0xbe8c1d8e, v157
	v_fmac_f32_e32 v124, 0xbf06c442, v3
	v_fmamk_f32 v167, v4, 0x3f3d2fb0, v160
	v_fmamk_f32 v151, v3, 0x3f7ee86f, v144
	v_fmac_f32_e32 v144, 0xbf7ee86f, v3
	v_fmamk_f32 v153, v3, 0x3f2c7751, v146
	v_fmac_f32_e32 v146, 0xbf2c7751, v3
	v_mul_f32_e32 v3, 0xbe3c28d5, v5
	v_mul_f32_e32 v5, 0xbeb8f4ab, v5
	v_fma_f32 v157, 0xbe8c1d8e, v4, -v157
	v_fma_f32 v158, 0x3dbcf732, v4, -v158
	;; [unrolled: 1-line block ×3, first 2 shown]
	v_add_f32_e32 v2, v119, v2
	v_fmamk_f32 v168, v4, 0x3f6eb680, v5
	v_fma_f32 v159, 0x3ee437d1, v4, -v159
	v_mul_f32_e32 v217, 0xbf763a35, v132
	v_mul_f32_e32 v211, 0xbe8c1d8e, v141
	scratch_store_b32 off, v2, off offset:216 ; 4-byte Folded Spill
	v_dual_add_f32 v168, v118, v168 :: v_dual_fmamk_f32 v161, v4, 0xbf7ba420, v3
	v_add_f32_e32 v12, v119, v153
	v_fma_f32 v3, 0xbf7ba420, v4, -v3
	v_fma_f32 v4, 0x3f6eb680, v4, -v5
	v_add_f32_e32 v5, v119, v147
	v_add_f32_e32 v147, v118, v161
	;; [unrolled: 1-line block ×8, first 2 shown]
	scratch_store_b32 off, v3, off offset:272 ; 4-byte Folded Spill
	v_add_f32_e32 v3, v119, v124
	v_add_f32_e32 v2, v118, v4
	scratch_store_b32 off, v13, off offset:276 ; 4-byte Folded Spill
	v_mul_f32_e32 v214, 0x3f2c7751, v134
	v_mul_f32_e32 v216, 0x3f65296c, v138
	s_clause 0x1
	scratch_store_b32 off, v3, off offset:268
	scratch_store_b32 off, v2, off offset:220
	v_dual_add_f32 v3, v118, v155 :: v_dual_mul_f32 v220, 0x3ee437d1, v136
	v_mul_f32_e32 v219, 0x3f7ee86f, v137
	v_mul_f32_e32 v237, 0x3dbcf732, v142
	;; [unrolled: 1-line block ×3, first 2 shown]
	scratch_store_b32 off, v3, off offset:264 ; 4-byte Folded Spill
	v_add_f32_e32 v3, v119, v127
	v_mul_f32_e32 v222, 0xbf1a4643, v143
	v_mul_f32_e32 v223, 0x3f6eb680, v142
	;; [unrolled: 1-line block ×4, first 2 shown]
	scratch_store_b32 off, v3, off offset:260 ; 4-byte Folded Spill
	v_dual_add_f32 v3, v118, v156 :: v_dual_mul_f32 v230, 0xbe3c28d5, v138
	v_mul_f32_e32 v224, 0xbf7ba420, v140
	v_mul_f32_e32 v226, 0x3f65296c, v133
	;; [unrolled: 1-line block ×3, first 2 shown]
	scratch_store_b32 off, v3, off offset:256 ; 4-byte Folded Spill
	v_add_f32_e32 v3, v119, v128
	v_add_f32_e32 v165, v118, v166
	v_dual_add_f32 v166, v118, v167 :: v_dual_add_f32 v167, v119, v154
	v_mul_f32_e32 v242, 0x3f7ee86f, v131
	scratch_store_b32 off, v3, off offset:252 ; 4-byte Folded Spill
	v_add_f32_e32 v3, v118, v157
	v_dual_mul_f32 v229, 0xbeb8f4ab, v131 :: v_dual_mul_f32 v240, 0xbeb8f4ab, v126
	v_mul_f32_e32 v238, 0x3f3d2fb0, v140
	v_mul_f32_e32 v231, 0x3f2c7751, v132
	scratch_store_b32 off, v3, off offset:248 ; 4-byte Folded Spill
	v_dual_add_f32 v3, v119, v144 :: v_dual_mul_f32 v232, 0xbe8c1d8e, v139
	v_dual_add_f32 v150, v119, v150 :: v_dual_mul_f32 v233, 0xbf763a35, v137
	v_mul_f32_e32 v235, 0x3f6eb680, v135
	scratch_store_b32 off, v3, off offset:244 ; 4-byte Folded Spill
	v_dual_add_f32 v3, v118, v158 :: v_dual_mul_f32 v236, 0xbf59a7d5, v143
	v_mul_f32_e32 v247, 0xbf59a7d5, v136
	v_fmamk_f32 v128, v6, 0x3eb8f4ab, v235
	v_mul_f32_e32 v234, 0xbe8c1d8e, v136
	scratch_store_b32 off, v3, off offset:240 ; 4-byte Folded Spill
	v_add_f32_e32 v3, v119, v145
	v_fmamk_f32 v145, v6, 0xbf2c7751, v248
	v_mul_f32_e32 v239, 0x3f763a35, v133
	v_mul_f32_e32 v241, 0xbf06c442, v134
	;; [unrolled: 1-line block ×3, first 2 shown]
	scratch_store_b32 off, v3, off offset:236 ; 4-byte Folded Spill
	v_add_f32_e32 v3, v118, v159
	v_mul_f32_e32 v243, 0xbf2c7751, v138
	v_dual_mul_f32 v244, 0xbe3c28d5, v132 :: v_dual_mul_f32 v255, 0xbe3c28d5, v131
	v_mul_f32_e32 v254, 0xbf65296c, v134
	scratch_store_b32 off, v3, off offset:232 ; 4-byte Folded Spill
	v_add_f32_e32 v3, v119, v146
	v_mul_f32_e32 v245, 0x3ee437d1, v139
	v_mul_f32_e32 v246, 0x3f65296c, v137
	;; [unrolled: 1-line block ×4, first 2 shown]
	scratch_store_b32 off, v3, off offset:228 ; 4-byte Folded Spill
	v_add_f32_e32 v3, v118, v160
	v_mul_f32_e32 v160, 0x3f6eb680, v136
	v_mul_f32_e32 v251, 0x3dbcf732, v140
	;; [unrolled: 1-line block ×4, first 2 shown]
	scratch_store_b32 off, v3, off offset:224 ; 4-byte Folded Spill
	v_fmamk_f32 v2, v130, 0xbeb8f4ab, v160
	v_fmamk_f32 v3, v6, 0x3f06c442, v177
	v_add_f32_e32 v151, v119, v151
	v_mul_f32_e32 v253, 0x3f2c7751, v126
	s_delay_alu instid0(VALU_DEP_4) | instskip(SKIP_3) | instid1(VALU_DEP_4)
	v_dual_mov_b32 v157, v115 :: v_dual_add_f32 v2, v2, v5
	v_add_f32_e32 v175, v210, v0
	v_fmamk_f32 v5, v6, 0x3f7ee86f, v221
	v_dual_mul_f32 v210, 0xbf06c442, v126 :: v_dual_mov_b32 v155, v113
	v_dual_add_f32 v2, v3, v2 :: v_dual_fmamk_f32 v3, v10, 0xbf2c7751, v178
	v_mul_f32_e32 v185, 0xbf7ba420, v136
	s_delay_alu instid0(VALU_DEP_3)
	v_fmamk_f32 v4, v7, 0xbf59a7d5, v210
	v_mov_b32_e32 v156, v114
	v_mov_b32_e32 v154, v112
	v_dual_add_f32 v2, v3, v2 :: v_dual_fmamk_f32 v3, v8, 0x3f4c4adb, v179
	v_dual_mov_b32 v115, v111 :: v_dual_mul_f32 v184, 0xbf4c4adb, v137
	v_mov_b32_e32 v113, v109
	s_delay_alu instid0(VALU_DEP_3) | instskip(SKIP_4) | instid1(VALU_DEP_4)
	v_dual_mul_f32 v183, 0xbf1a4643, v139 :: v_dual_add_f32 v2, v3, v2
	v_fmamk_f32 v3, v122, 0xbf65296c, v180
	v_mov_b32_e32 v114, v110
	v_dual_mov_b32 v112, v108 :: v_dual_mov_b32 v111, v107
	v_mov_b32_e32 v110, v106
	v_dual_add_f32 v2, v3, v2 :: v_dual_fmamk_f32 v3, v125, 0x3f6eb680, v187
	v_dual_mov_b32 v109, v105 :: v_dual_mov_b32 v108, v104
	v_dual_mov_b32 v107, v103 :: v_dual_mov_b32 v106, v102
	s_delay_alu instid0(VALU_DEP_3) | instskip(SKIP_3) | instid1(VALU_DEP_4)
	v_add_f32_e32 v3, v3, v147
	v_fmamk_f32 v147, v6, 0xbf763a35, v186
	v_dual_mov_b32 v105, v101 :: v_dual_mov_b32 v104, v100
	v_mov_b32_e32 v103, v99
	v_add_f32_e32 v3, v4, v3
	v_fmamk_f32 v4, v120, 0x3f763a35, v211
	v_dual_mov_b32 v102, v98 :: v_dual_mov_b32 v101, v97
	v_dual_mov_b32 v100, v96 :: v_dual_mov_b32 v99, v95
	s_delay_alu instid0(VALU_DEP_3) | instskip(SKIP_3) | instid1(VALU_DEP_3)
	v_add_f32_e32 v2, v4, v2
	v_fmamk_f32 v4, v11, 0x3f3d2fb0, v214
	v_dual_mov_b32 v98, v94 :: v_dual_mov_b32 v97, v93
	v_dual_mov_b32 v96, v92 :: v_dual_mov_b32 v95, v91
	v_dual_add_f32 v3, v4, v3 :: v_dual_fmamk_f32 v4, v9, 0xbf1a4643, v215
	v_dual_mov_b32 v94, v90 :: v_dual_mov_b32 v93, v89
	v_dual_mov_b32 v92, v88 :: v_dual_mov_b32 v91, v87
	s_delay_alu instid0(VALU_DEP_3) | instskip(SKIP_2) | instid1(VALU_DEP_3)
	v_dual_add_f32 v3, v4, v3 :: v_dual_fmamk_f32 v4, v129, 0x3ee437d1, v216
	v_dual_mov_b32 v90, v86 :: v_dual_mov_b32 v89, v85
	v_dual_mov_b32 v88, v84 :: v_dual_mov_b32 v87, v83
	v_dual_add_f32 v3, v4, v3 :: v_dual_fmamk_f32 v4, v121, 0xbe8c1d8e, v217
	v_dual_mov_b32 v86, v82 :: v_dual_mov_b32 v85, v81
	v_dual_mov_b32 v84, v80 :: v_dual_mov_b32 v83, v77
	s_delay_alu instid0(VALU_DEP_3) | instskip(SKIP_3) | instid1(VALU_DEP_3)
	v_add_f32_e32 v4, v4, v3
	v_mul_f32_e32 v218, 0x3dbcf732, v139
	v_dual_mov_b32 v82, v76 :: v_dual_mov_b32 v81, v75
	v_dual_mov_b32 v80, v74 :: v_dual_mov_b32 v75, v43
	v_dual_fmamk_f32 v3, v117, 0xbf7ee86f, v218 :: v_dual_mov_b32 v74, v42
	v_dual_mov_b32 v73, v41 :: v_dual_mov_b32 v72, v40
	v_mov_b32_e32 v40, v188
	s_delay_alu instid0(VALU_DEP_3) | instskip(SKIP_3) | instid1(VALU_DEP_3)
	v_add_f32_e32 v172, v3, v2
	v_dual_fmamk_f32 v2, v116, 0x3dbcf732, v219 :: v_dual_mov_b32 v41, v189
	v_mul_f32_e32 v188, 0x3f6eb680, v143
	v_dual_mul_f32 v189, 0x3ee437d1, v142 :: v_dual_mov_b32 v42, v190
	v_add_f32_e32 v171, v2, v4
	v_dual_fmamk_f32 v4, v130, 0xbf65296c, v220 :: v_dual_mov_b32 v43, v191
	v_mul_f32_e32 v190, 0xbf59a7d5, v140
	v_mul_f32_e32 v191, 0xbe3c28d5, v133
	s_delay_alu instid0(VALU_DEP_3)
	v_dual_mul_f32 v153, 0x3f763a35, v126 :: v_dual_add_f32 v4, v4, v148
	v_mul_f32_e32 v44, 0x3eb8f4ab, v134
	v_mul_f32_e32 v194, 0xbf65296c, v131
	v_mov_b32_e32 v48, v198
	v_mov_b32_e32 v50, v200
	v_dual_add_f32 v4, v5, v4 :: v_dual_fmamk_f32 v5, v10, 0xbf4c4adb, v222
	v_mul_f32_e32 v195, 0xbf06c442, v138
	v_mov_b32_e32 v49, v199
	v_dual_mov_b32 v51, v201 :: v_dual_mov_b32 v52, v202
	s_delay_alu instid0(VALU_DEP_4) | instskip(SKIP_2) | instid1(VALU_DEP_3)
	v_dual_add_f32 v4, v5, v4 :: v_dual_fmamk_f32 v5, v8, 0x3eb8f4ab, v223
	v_dual_mov_b32 v53, v203 :: v_dual_mul_f32 v196, 0x3f4c4adb, v132
	v_dual_mov_b32 v158, v197 :: v_dual_mul_f32 v197, 0x3f3d2fb0, v139
	v_dual_add_f32 v4, v5, v4 :: v_dual_fmamk_f32 v5, v122, 0x3e3c28d5, v224
	v_mul_f32_e32 v198, 0x3f2c7751, v137
	v_mul_f32_e32 v199, 0xbf1a4643, v136
	v_add_f32_e32 v152, v119, v152
	v_mul_f32_e32 v200, 0xbe8c1d8e, v143
	v_add_f32_e32 v4, v5, v4
	v_fmamk_f32 v5, v125, 0x3ee437d1, v226
	v_mov_b32_e32 v119, v79
	v_mov_b32_e32 v79, v71
	v_mul_f32_e32 v201, 0x3f3d2fb0, v142
	v_dual_mul_f32 v202, 0x3f6eb680, v140 :: v_dual_mov_b32 v77, v69
	v_add_f32_e32 v5, v5, v161
	v_mul_f32_e32 v161, 0x3f3d2fb0, v141
	v_mul_f32_e32 v203, 0xbf4c4adb, v133
	;; [unrolled: 1-line block ×3, first 2 shown]
	v_mov_b32_e32 v78, v70
	v_mov_b32_e32 v76, v68
	v_fmamk_f32 v127, v120, 0xbf2c7751, v161
	v_dual_mov_b32 v70, v208 :: v_dual_mul_f32 v205, 0x3f763a35, v134
	v_mul_f32_e32 v69, 0xbeb8f4ab, v138
	s_delay_alu instid0(VALU_DEP_3) | instskip(SKIP_4) | instid1(VALU_DEP_4)
	v_dual_mov_b32 v71, v209 :: v_dual_add_f32 v4, v127, v4
	v_fmamk_f32 v127, v7, 0x3dbcf732, v227
	v_mul_f32_e32 v68, 0x3f2c7751, v131
	v_mul_f32_e32 v2, 0xbe3c28d5, v134
	;; [unrolled: 1-line block ×3, first 2 shown]
	v_dual_mov_b32 v32, v173 :: v_dual_add_f32 v5, v127, v5
	v_fmamk_f32 v127, v11, 0xbf1a4643, v228
	v_mov_b32_e32 v159, v213
	s_delay_alu instid0(VALU_DEP_4)
	v_fmamk_f32 v1, v8, 0xbf06c442, v0
	v_mov_b32_e32 v33, v174
	v_fmamk_f32 v3, v11, 0xbf7ba420, v2
	v_add_f32_e32 v5, v127, v5
	v_fmamk_f32 v127, v9, 0x3f6eb680, v229
	v_fmamk_f32 v21, v120, 0x3f06c442, v20
	v_mul_f32_e32 v18, 0x3ee437d1, v135
	v_dual_mul_f32 v24, 0xbf4c4adb, v138 :: v_dual_fmac_f32 v179, 0xbf4c4adb, v8
	s_delay_alu instid0(VALU_DEP_4) | instskip(SKIP_2) | instid1(VALU_DEP_4)
	v_add_f32_e32 v5, v127, v5
	v_fmamk_f32 v127, v129, 0xbf7ba420, v230
	v_mul_f32_e32 v208, 0xbf7ee86f, v132
	v_fmamk_f32 v25, v129, 0xbf1a4643, v24
	v_fmamk_f32 v19, v6, 0x3f65296c, v18
	v_mul_f32_e32 v209, 0xbf59a7d5, v139
	v_add_f32_e32 v5, v127, v5
	v_fmamk_f32 v127, v121, 0x3f3d2fb0, v231
	v_mul_f32_e32 v213, 0x3dbcf732, v136
	v_dual_mul_f32 v173, 0xbf1a4643, v135 :: v_dual_mov_b32 v118, v225
	v_mul_f32_e32 v225, 0xbf06c442, v137
	s_delay_alu instid0(VALU_DEP_4)
	v_add_f32_e32 v127, v127, v5
	v_fmamk_f32 v5, v117, 0x3f763a35, v232
	v_mul_f32_e32 v174, 0xbf7ba420, v143
	v_mul_f32_e32 v16, 0x3f6eb680, v139
	v_fmac_f32_e32 v223, 0xbeb8f4ab, v8
	v_fmac_f32_e32 v220, 0x3f65296c, v130
	v_add_f32_e32 v124, v5, v4
	v_fmamk_f32 v4, v116, 0xbe8c1d8e, v233
	v_fmamk_f32 v17, v117, 0xbeb8f4ab, v16
	v_fmac_f32_e32 v160, 0x3eb8f4ab, v130
	v_fmac_f32_e32 v218, 0x3f7ee86f, v117
	v_mul_f32_e32 v23, 0xbf65296c, v126
	v_add_f32_e32 v123, v4, v127
	v_fmamk_f32 v127, v130, 0xbf763a35, v234
	v_mul_f32_e32 v4, 0x3f763a35, v138
	v_fmac_f32_e32 v221, 0xbf7ee86f, v6
	v_dual_fmac_f32 v178, 0x3f2c7751, v10 :: v_dual_fmac_f32 v161, 0x3f2c7751, v120
	s_delay_alu instid0(VALU_DEP_4) | instskip(NEXT) | instid1(VALU_DEP_4)
	v_add_f32_e32 v127, v127, v149
	v_fmamk_f32 v5, v129, 0xbe8c1d8e, v4
	v_fmac_f32_e32 v232, 0xbf763a35, v117
	v_fmac_f32_e32 v177, 0xbf06c442, v6
	s_delay_alu instid0(VALU_DEP_4)
	v_dual_fmac_f32 v224, 0xbe3c28d5, v122 :: v_dual_add_f32 v127, v128, v127
	v_fmamk_f32 v128, v10, 0x3f06c442, v236
	v_fmac_f32_e32 v222, 0x3f4c4adb, v10
	v_fmac_f32_e32 v180, 0x3f65296c, v122
	;; [unrolled: 1-line block ×3, first 2 shown]
	v_mul_f32_e32 v27, 0xbe3c28d5, v137
	v_add_f32_e32 v127, v128, v127
	v_fmamk_f32 v128, v8, 0xbf7ee86f, v237
	v_fmac_f32_e32 v248, 0x3f2c7751, v6
	s_delay_alu instid0(VALU_DEP_2) | instskip(SKIP_1) | instid1(VALU_DEP_1)
	v_dual_fmac_f32 v186, 0x3f763a35, v6 :: v_dual_add_f32 v127, v128, v127
	v_fmamk_f32 v128, v122, 0x3f2c7751, v238
	v_dual_add_f32 v127, v128, v127 :: v_dual_fmamk_f32 v128, v125, 0xbe8c1d8e, v239
	s_delay_alu instid0(VALU_DEP_1) | instskip(SKIP_1) | instid1(VALU_DEP_1)
	v_add_f32_e32 v128, v128, v162
	v_mul_f32_e32 v162, 0xbf7ba420, v141
	v_fmamk_f32 v144, v120, 0x3e3c28d5, v162
	v_fmac_f32_e32 v162, 0xbe3c28d5, v120
	s_delay_alu instid0(VALU_DEP_2) | instskip(SKIP_1) | instid1(VALU_DEP_1)
	v_dual_fmac_f32 v238, 0xbf2c7751, v122 :: v_dual_add_f32 v127, v144, v127
	v_fmamk_f32 v144, v7, 0x3f6eb680, v240
	v_add_f32_e32 v128, v144, v128
	v_fmamk_f32 v144, v11, 0xbf59a7d5, v241
	s_delay_alu instid0(VALU_DEP_1) | instskip(SKIP_1) | instid1(VALU_DEP_1)
	v_add_f32_e32 v128, v144, v128
	v_fmamk_f32 v144, v9, 0x3dbcf732, v242
	v_add_f32_e32 v128, v144, v128
	v_fmamk_f32 v144, v129, 0x3f3d2fb0, v243
	s_delay_alu instid0(VALU_DEP_1) | instskip(SKIP_1) | instid1(VALU_DEP_1)
	v_add_f32_e32 v128, v144, v128
	;; [unrolled: 5-line block ×3, first 2 shown]
	v_fmamk_f32 v127, v116, 0x3ee437d1, v246
	v_dual_add_f32 v127, v127, v144 :: v_dual_fmamk_f32 v144, v130, 0xbf06c442, v247
	v_fmac_f32_e32 v247, 0x3f06c442, v130
	s_delay_alu instid0(VALU_DEP_2) | instskip(NEXT) | instid1(VALU_DEP_1)
	v_add_f32_e32 v144, v144, v150
	v_dual_add_f32 v144, v145, v144 :: v_dual_fmamk_f32 v145, v10, 0x3f65296c, v249
	s_delay_alu instid0(VALU_DEP_1) | instskip(NEXT) | instid1(VALU_DEP_1)
	v_dual_add_f32 v144, v145, v144 :: v_dual_fmamk_f32 v145, v8, 0x3e3c28d5, v250
	v_dual_add_f32 v144, v145, v144 :: v_dual_fmamk_f32 v145, v122, 0xbf7ee86f, v251
	s_delay_alu instid0(VALU_DEP_1) | instskip(SKIP_2) | instid1(VALU_DEP_2)
	v_add_f32_e32 v144, v145, v144
	v_fmamk_f32 v145, v125, 0xbf59a7d5, v252
	v_fmac_f32_e32 v237, 0x3f7ee86f, v8
	v_dual_fmac_f32 v236, 0xbf06c442, v10 :: v_dual_add_f32 v145, v145, v163
	v_mul_f32_e32 v163, 0x3f6eb680, v141
	s_delay_alu instid0(VALU_DEP_1) | instskip(NEXT) | instid1(VALU_DEP_1)
	v_fmamk_f32 v146, v120, 0x3eb8f4ab, v163
	v_add_f32_e32 v144, v146, v144
	v_fmamk_f32 v146, v7, 0x3f3d2fb0, v253
	s_delay_alu instid0(VALU_DEP_1) | instskip(SKIP_2) | instid1(VALU_DEP_3)
	v_dual_add_f32 v145, v146, v145 :: v_dual_fmamk_f32 v146, v11, 0x3ee437d1, v254
	v_fmac_f32_e32 v245, 0x3f65296c, v117
	v_fmac_f32_e32 v235, 0xbeb8f4ab, v6
	v_dual_fmac_f32 v234, 0x3f763a35, v130 :: v_dual_add_f32 v145, v146, v145
	v_fmamk_f32 v146, v9, 0xbf7ba420, v255
	s_delay_alu instid0(VALU_DEP_1) | instskip(SKIP_1) | instid1(VALU_DEP_2)
	v_dual_add_f32 v145, v146, v145 :: v_dual_fmamk_f32 v146, v129, 0x3dbcf732, v181
	v_fmac_f32_e32 v251, 0x3f7ee86f, v122
	v_dual_add_f32 v145, v146, v145 :: v_dual_fmamk_f32 v146, v121, 0x3f6eb680, v182
	s_delay_alu instid0(VALU_DEP_1) | instskip(SKIP_1) | instid1(VALU_DEP_1)
	v_dual_fmac_f32 v163, 0xbeb8f4ab, v120 :: v_dual_add_f32 v146, v146, v145
	v_fmamk_f32 v145, v117, 0x3f4c4adb, v183
	v_dual_add_f32 v145, v145, v144 :: v_dual_fmamk_f32 v144, v116, 0xbf1a4643, v184
	v_fmac_f32_e32 v183, 0xbf4c4adb, v117
	v_fmac_f32_e32 v249, 0xbf65296c, v10
	;; [unrolled: 1-line block ×3, first 2 shown]
	s_delay_alu instid0(VALU_DEP_4) | instskip(SKIP_1) | instid1(VALU_DEP_1)
	v_add_f32_e32 v144, v144, v146
	v_fmamk_f32 v146, v130, 0x3e3c28d5, v185
	v_add_f32_e32 v146, v146, v151
	s_delay_alu instid0(VALU_DEP_1) | instskip(SKIP_1) | instid1(VALU_DEP_1)
	v_dual_fmamk_f32 v151, v6, 0x3f4c4adb, v173 :: v_dual_add_f32 v146, v147, v146
	v_fmamk_f32 v147, v10, 0xbeb8f4ab, v188
	v_dual_add_f32 v146, v147, v146 :: v_dual_fmamk_f32 v147, v8, 0x3f65296c, v189
	s_delay_alu instid0(VALU_DEP_1) | instskip(SKIP_1) | instid1(VALU_DEP_1)
	v_dual_fmac_f32 v189, 0xbf65296c, v8 :: v_dual_add_f32 v146, v147, v146
	v_fmamk_f32 v147, v122, 0x3f06c442, v190
	v_dual_add_f32 v146, v147, v146 :: v_dual_fmamk_f32 v147, v125, 0xbf7ba420, v191
	v_fmac_f32_e32 v185, 0xbe3c28d5, v130
	s_delay_alu instid0(VALU_DEP_2) | instskip(SKIP_1) | instid1(VALU_DEP_2)
	v_dual_add_f32 v147, v147, v164 :: v_dual_mul_f32 v164, 0xbf1a4643, v141
	v_fmac_f32_e32 v188, 0x3eb8f4ab, v10
	v_fmamk_f32 v148, v120, 0xbf4c4adb, v164
	v_fmac_f32_e32 v164, 0x3f4c4adb, v120
	s_delay_alu instid0(VALU_DEP_2) | instskip(SKIP_1) | instid1(VALU_DEP_1)
	v_add_f32_e32 v146, v148, v146
	v_fmamk_f32 v148, v7, 0xbe8c1d8e, v153
	v_dual_add_f32 v147, v148, v147 :: v_dual_fmamk_f32 v148, v11, 0x3f6eb680, v44
	s_delay_alu instid0(VALU_DEP_1) | instskip(SKIP_1) | instid1(VALU_DEP_1)
	v_dual_fmac_f32 v190, 0xbf06c442, v122 :: v_dual_add_f32 v147, v148, v147
	v_fmamk_f32 v148, v9, 0x3ee437d1, v194
	v_dual_add_f32 v147, v148, v147 :: v_dual_fmamk_f32 v148, v129, 0xbf59a7d5, v195
	s_delay_alu instid0(VALU_DEP_1) | instskip(NEXT) | instid1(VALU_DEP_1)
	v_dual_add_f32 v147, v148, v147 :: v_dual_fmamk_f32 v148, v121, 0xbf1a4643, v196
	v_dual_add_f32 v148, v148, v147 :: v_dual_fmamk_f32 v147, v117, 0xbf2c7751, v197
	v_fmac_f32_e32 v197, 0x3f2c7751, v117
	s_delay_alu instid0(VALU_DEP_2) | instskip(NEXT) | instid1(VALU_DEP_1)
	v_dual_add_f32 v147, v147, v146 :: v_dual_fmamk_f32 v146, v116, 0x3f3d2fb0, v198
	v_add_f32_e32 v146, v146, v148
	v_fmamk_f32 v148, v130, 0x3f4c4adb, v199
	s_delay_alu instid0(VALU_DEP_1) | instskip(SKIP_1) | instid1(VALU_DEP_1)
	v_add_f32_e32 v148, v148, v152
	v_mul_f32_e32 v152, 0xbf7ba420, v135
	v_fmamk_f32 v149, v6, 0xbe3c28d5, v152
	s_delay_alu instid0(VALU_DEP_1) | instskip(NEXT) | instid1(VALU_DEP_1)
	v_dual_add_f32 v148, v149, v148 :: v_dual_fmamk_f32 v149, v10, 0xbf763a35, v200
	v_dual_add_f32 v148, v149, v148 :: v_dual_fmamk_f32 v149, v8, 0xbf2c7751, v201
	v_fmac_f32_e32 v201, 0x3f2c7751, v8
	s_delay_alu instid0(VALU_DEP_2) | instskip(SKIP_2) | instid1(VALU_DEP_3)
	v_dual_add_f32 v148, v149, v148 :: v_dual_fmamk_f32 v149, v122, 0x3eb8f4ab, v202
	v_fmac_f32_e32 v199, 0xbf4c4adb, v130
	v_fmac_f32_e32 v202, 0xbeb8f4ab, v122
	v_add_f32_e32 v148, v149, v148
	v_fmamk_f32 v149, v125, 0xbf1a4643, v203
	s_delay_alu instid0(VALU_DEP_1) | instskip(SKIP_2) | instid1(VALU_DEP_2)
	v_add_f32_e32 v149, v149, v165
	v_mul_f32_e32 v165, 0x3dbcf732, v141
	v_fma_f32 v141, 0xbe8c1d8e, v7, -v153
	v_fmamk_f32 v150, v120, 0x3f7ee86f, v165
	v_fmac_f32_e32 v165, 0xbf7ee86f, v120
	s_delay_alu instid0(VALU_DEP_2) | instskip(SKIP_1) | instid1(VALU_DEP_1)
	v_add_f32_e32 v148, v150, v148
	v_fmamk_f32 v150, v7, 0xbf7ba420, v204
	v_dual_add_f32 v149, v150, v149 :: v_dual_fmamk_f32 v150, v11, 0xbe8c1d8e, v205
	s_delay_alu instid0(VALU_DEP_1) | instskip(NEXT) | instid1(VALU_DEP_1)
	v_dual_add_f32 v149, v150, v149 :: v_dual_fmamk_f32 v150, v9, 0x3f3d2fb0, v68
	v_dual_add_f32 v149, v150, v149 :: v_dual_fmamk_f32 v150, v129, 0x3f6eb680, v69
	v_fmac_f32_e32 v200, 0x3f763a35, v10
	s_delay_alu instid0(VALU_DEP_2) | instskip(SKIP_1) | instid1(VALU_DEP_1)
	v_dual_fmac_f32 v152, 0x3e3c28d5, v6 :: v_dual_add_f32 v149, v150, v149
	v_fmamk_f32 v150, v121, 0x3dbcf732, v208
	v_dual_add_f32 v150, v150, v149 :: v_dual_fmamk_f32 v149, v117, 0x3f06c442, v209
	v_fmac_f32_e32 v209, 0xbf06c442, v117
	s_delay_alu instid0(VALU_DEP_2) | instskip(NEXT) | instid1(VALU_DEP_1)
	v_dual_add_f32 v149, v149, v148 :: v_dual_fmamk_f32 v148, v116, 0xbf59a7d5, v225
	v_add_f32_e32 v148, v148, v150
	v_fmamk_f32 v150, v130, 0x3f7ee86f, v213
	s_delay_alu instid0(VALU_DEP_1) | instskip(SKIP_1) | instid1(VALU_DEP_1)
	v_add_f32_e32 v150, v150, v12
	v_mul_f32_e32 v12, 0xbe8c1d8e, v140
	v_dual_add_f32 v150, v151, v150 :: v_dual_fmamk_f32 v13, v122, 0xbf763a35, v12
	v_fmamk_f32 v151, v10, 0x3e3c28d5, v174
	s_delay_alu instid0(VALU_DEP_1) | instskip(NEXT) | instid1(VALU_DEP_1)
	v_add_f32_e32 v150, v151, v150
	v_dual_add_f32 v1, v1, v150 :: v_dual_fmamk_f32 v150, v120, 0xbf65296c, v15
	v_fmac_f32_e32 v15, 0x3f65296c, v120
	s_delay_alu instid0(VALU_DEP_2) | instskip(SKIP_1) | instid1(VALU_DEP_1)
	v_add_f32_e32 v1, v13, v1
	v_mul_f32_e32 v13, 0xbf7ee86f, v133
	v_dual_add_f32 v1, v150, v1 :: v_dual_fmamk_f32 v14, v125, 0x3dbcf732, v13
	s_delay_alu instid0(VALU_DEP_1) | instskip(NEXT) | instid1(VALU_DEP_2)
	v_dual_fmac_f32 v174, 0xbe3c28d5, v10 :: v_dual_add_f32 v151, v17, v1
	v_add_f32_e32 v14, v14, v166
	v_mul_f32_e32 v166, 0xbf4c4adb, v126
	v_mul_f32_e32 v1, 0x3eb8f4ab, v137
	v_fmamk_f32 v126, v7, 0x3ee437d1, v23
	scratch_load_b32 v137, off, off offset:256 th:TH_LOAD_LU ; 4-byte Folded Reload
	v_fmamk_f32 v150, v7, 0xbf1a4643, v166
	v_fmamk_f32 v17, v116, 0x3f6eb680, v1
	v_fma_f32 v1, 0x3f6eb680, v116, -v1
	s_delay_alu instid0(VALU_DEP_3) | instskip(NEXT) | instid1(VALU_DEP_1)
	v_add_f32_e32 v14, v150, v14
	v_dual_add_f32 v3, v3, v14 :: v_dual_mul_f32 v14, 0x3f06c442, v131
	s_delay_alu instid0(VALU_DEP_1) | instskip(NEXT) | instid1(VALU_DEP_1)
	v_fmamk_f32 v150, v9, 0xbf59a7d5, v14
	v_add_f32_e32 v3, v150, v3
	s_delay_alu instid0(VALU_DEP_1) | instskip(SKIP_1) | instid1(VALU_DEP_1)
	v_add_f32_e32 v3, v5, v3
	v_mul_f32_e32 v5, 0x3f65296c, v132
	v_fmamk_f32 v150, v121, 0x3ee437d1, v5
	v_fma_f32 v5, 0x3ee437d1, v121, -v5
	s_delay_alu instid0(VALU_DEP_2) | instskip(NEXT) | instid1(VALU_DEP_1)
	v_add_f32_e32 v3, v150, v3
	v_dual_add_f32 v150, v17, v3 :: v_dual_mul_f32 v3, 0x3f3d2fb0, v136
	s_delay_alu instid0(VALU_DEP_1) | instskip(SKIP_3) | instid1(VALU_DEP_4)
	v_fmamk_f32 v17, v130, 0x3f2c7751, v3
	v_fmac_f32_e32 v3, 0xbf2c7751, v130
	v_fmac_f32_e32 v0, 0x3f06c442, v8
	;; [unrolled: 1-line block ×3, first 2 shown]
	v_add_f32_e32 v17, v17, v167
	v_mul_f32_e32 v167, 0xbf1a4643, v140
	s_delay_alu instid0(VALU_DEP_2) | instskip(SKIP_2) | instid1(VALU_DEP_2)
	v_add_f32_e32 v17, v19, v17
	v_mul_f32_e32 v19, 0x3dbcf732, v143
	v_mul_f32_e32 v143, 0xbe8c1d8e, v142
	v_fmamk_f32 v135, v10, 0x3f7ee86f, v19
	v_fmac_f32_e32 v19, 0xbf7ee86f, v10
	s_delay_alu instid0(VALU_DEP_2) | instskip(NEXT) | instid1(VALU_DEP_4)
	v_add_f32_e32 v17, v135, v17
	v_fmamk_f32 v135, v8, 0x3f763a35, v143
	v_fma_f32 v2, 0xbf7ba420, v11, -v2
	v_fma_f32 v4, 0xbe8c1d8e, v129, -v4
	s_delay_alu instid0(VALU_DEP_3) | instskip(SKIP_3) | instid1(VALU_DEP_3)
	v_add_f32_e32 v17, v135, v17
	v_fmamk_f32 v135, v122, 0x3f4c4adb, v167
	v_fma_f32 v10, 0xbf59a7d5, v9, -v14
	v_fmac_f32_e32 v167, 0xbf4c4adb, v122
	v_add_f32_e32 v17, v135, v17
	scratch_load_b32 v135, off, off offset:264 th:TH_LOAD_LU ; 4-byte Folded Reload
	v_add_f32_e32 v17, v21, v17
	v_mul_f32_e32 v21, 0xbf2c7751, v133
	v_fmac_f32_e32 v18, 0xbf65296c, v6
	v_fmac_f32_e32 v12, 0x3f763a35, v122
	;; [unrolled: 1-line block ×3, first 2 shown]
	scratch_load_b32 v6, off, off offset:220 th:TH_LOAD_LU ; 4-byte Folded Reload
	v_fmamk_f32 v22, v125, 0x3f3d2fb0, v21
	s_delay_alu instid0(VALU_DEP_1) | instskip(SKIP_1) | instid1(VALU_DEP_2)
	v_add_f32_e32 v22, v22, v168
	v_mul_f32_e32 v168, 0xbf763a35, v131
	v_add_f32_e32 v22, v126, v22
	v_mul_f32_e32 v126, 0xbf7ee86f, v134
	s_delay_alu instid0(VALU_DEP_3) | instskip(NEXT) | instid1(VALU_DEP_2)
	v_fmamk_f32 v131, v9, 0xbe8c1d8e, v168
	v_fmamk_f32 v133, v11, 0x3dbcf732, v126
	s_delay_alu instid0(VALU_DEP_1) | instskip(SKIP_2) | instid1(VALU_DEP_1)
	v_add_f32_e32 v22, v133, v22
	scratch_load_b32 v133, off, off offset:272 th:TH_LOAD_LU ; 4-byte Folded Reload
	v_add_f32_e32 v22, v131, v22
	v_dual_add_f32 v22, v25, v22 :: v_dual_mul_f32 v25, 0xbf06c442, v132
	s_delay_alu instid0(VALU_DEP_1) | instskip(NEXT) | instid1(VALU_DEP_1)
	v_fmamk_f32 v26, v121, 0xbf59a7d5, v25
	v_add_f32_e32 v22, v26, v22
	v_mul_f32_e32 v26, 0xbf7ba420, v139
	scratch_load_b32 v139, off, off offset:248 th:TH_LOAD_LU ; 4-byte Folded Reload
	v_fmamk_f32 v131, v117, 0x3e3c28d5, v26
	s_delay_alu instid0(VALU_DEP_1) | instskip(NEXT) | instid1(VALU_DEP_1)
	v_dual_add_f32 v132, v131, v17 :: v_dual_fmamk_f32 v17, v116, 0xbf7ba420, v27
	v_add_f32_e32 v131, v17, v22
	scratch_load_b32 v17, off, off offset:276 th:TH_LOAD_LU ; 4-byte Folded Reload
	v_fma_f32 v22, 0x3f6eb680, v125, -v187
	s_wait_loadcnt 0x0
	v_dual_fmac_f32 v20, 0xbf06c442, v120 :: v_dual_add_f32 v17, v160, v17
	s_delay_alu instid0(VALU_DEP_1) | instskip(NEXT) | instid1(VALU_DEP_1)
	v_add_f32_e32 v17, v177, v17
	v_add_f32_e32 v17, v178, v17
	s_delay_alu instid0(VALU_DEP_1) | instskip(NEXT) | instid1(VALU_DEP_1)
	v_add_f32_e32 v17, v179, v17
	v_add_f32_e32 v17, v180, v17
	;; [unrolled: 3-line block ×3, first 2 shown]
	scratch_load_b32 v17, off, off offset:268 th:TH_LOAD_LU ; 4-byte Folded Reload
	s_wait_loadcnt 0x0
	v_add_f32_e32 v17, v220, v17
	s_delay_alu instid0(VALU_DEP_1) | instskip(NEXT) | instid1(VALU_DEP_1)
	v_add_f32_e32 v17, v221, v17
	v_add_f32_e32 v17, v222, v17
	s_delay_alu instid0(VALU_DEP_1) | instskip(NEXT) | instid1(VALU_DEP_1)
	v_add_f32_e32 v17, v223, v17
	;; [unrolled: 3-line block ×3, first 2 shown]
	v_add_f32_e32 v136, v232, v17
	scratch_load_b32 v17, off, off offset:260 th:TH_LOAD_LU ; 4-byte Folded Reload
	s_wait_loadcnt 0x0
	v_add_f32_e32 v17, v234, v17
	s_delay_alu instid0(VALU_DEP_1) | instskip(NEXT) | instid1(VALU_DEP_1)
	v_add_f32_e32 v17, v235, v17
	v_add_f32_e32 v17, v236, v17
	s_delay_alu instid0(VALU_DEP_1) | instskip(NEXT) | instid1(VALU_DEP_1)
	v_add_f32_e32 v17, v237, v17
	;; [unrolled: 3-line block ×3, first 2 shown]
	v_add_f32_e32 v138, v245, v17
	scratch_load_b32 v17, off, off offset:252 th:TH_LOAD_LU ; 4-byte Folded Reload
	v_add_f32_e32 v22, v22, v133
	v_fma_f32 v133, 0xbf59a7d5, v7, -v210
	s_delay_alu instid0(VALU_DEP_1) | instskip(SKIP_1) | instid1(VALU_DEP_1)
	v_add_f32_e32 v22, v133, v22
	v_fma_f32 v133, 0x3f3d2fb0, v11, -v214
	v_add_f32_e32 v22, v133, v22
	v_fma_f32 v133, 0xbf1a4643, v9, -v215
	s_delay_alu instid0(VALU_DEP_1) | instskip(SKIP_1) | instid1(VALU_DEP_1)
	v_add_f32_e32 v22, v133, v22
	v_fma_f32 v133, 0x3ee437d1, v129, -v216
	;; [unrolled: 5-line block ×3, first 2 shown]
	v_add_f32_e32 v133, v133, v22
	v_fma_f32 v22, 0x3ee437d1, v125, -v226
	s_wait_loadcnt 0x0
	v_add_f32_e32 v17, v247, v17
	s_delay_alu instid0(VALU_DEP_1) | instskip(NEXT) | instid1(VALU_DEP_1)
	v_add_f32_e32 v17, v248, v17
	v_add_f32_e32 v17, v249, v17
	s_delay_alu instid0(VALU_DEP_1) | instskip(NEXT) | instid1(VALU_DEP_1)
	v_add_f32_e32 v17, v250, v17
	;; [unrolled: 3-line block ×3, first 2 shown]
	v_add_f32_e32 v140, v183, v17
	scratch_load_b32 v17, off, off offset:244 th:TH_LOAD_LU ; 4-byte Folded Reload
	v_add_f32_e32 v22, v22, v135
	v_fma_f32 v135, 0x3dbcf732, v7, -v227
	s_delay_alu instid0(VALU_DEP_1) | instskip(SKIP_1) | instid1(VALU_DEP_1)
	v_add_f32_e32 v22, v135, v22
	v_fma_f32 v135, 0xbf1a4643, v11, -v228
	v_add_f32_e32 v22, v135, v22
	v_fma_f32 v135, 0x3f6eb680, v9, -v229
	s_delay_alu instid0(VALU_DEP_1) | instskip(SKIP_1) | instid1(VALU_DEP_1)
	v_add_f32_e32 v22, v135, v22
	v_fma_f32 v135, 0xbf7ba420, v129, -v230
	;; [unrolled: 5-line block ×3, first 2 shown]
	v_add_f32_e32 v135, v135, v22
	v_fma_f32 v22, 0xbe8c1d8e, v125, -v239
	s_wait_loadcnt 0x0
	v_add_f32_e32 v17, v185, v17
	s_delay_alu instid0(VALU_DEP_1) | instskip(SKIP_1) | instid1(VALU_DEP_2)
	v_dual_add_f32 v17, v186, v17 :: v_dual_mov_b32 v186, v39
	v_mov_b32_e32 v185, v38
	v_add_f32_e32 v17, v188, v17
	s_delay_alu instid0(VALU_DEP_1) | instskip(SKIP_1) | instid1(VALU_DEP_2)
	v_add_f32_e32 v17, v189, v17
	v_dual_mov_b32 v189, v41 :: v_dual_mov_b32 v188, v40
	v_add_f32_e32 v17, v190, v17
	s_delay_alu instid0(VALU_DEP_1) | instskip(NEXT) | instid1(VALU_DEP_1)
	v_add_f32_e32 v17, v164, v17
	v_dual_add_f32 v142, v197, v17 :: v_dual_mov_b32 v197, v158
	scratch_load_b32 v17, off, off offset:236 th:TH_LOAD_LU ; 4-byte Folded Reload
	v_add_f32_e32 v22, v22, v137
	v_fma_f32 v137, 0x3f6eb680, v7, -v240
	s_delay_alu instid0(VALU_DEP_1) | instskip(SKIP_1) | instid1(VALU_DEP_1)
	v_add_f32_e32 v22, v137, v22
	v_fma_f32 v137, 0xbf59a7d5, v11, -v241
	v_add_f32_e32 v22, v137, v22
	v_fma_f32 v137, 0x3dbcf732, v9, -v242
	s_delay_alu instid0(VALU_DEP_1) | instskip(SKIP_1) | instid1(VALU_DEP_1)
	v_add_f32_e32 v22, v137, v22
	v_fma_f32 v137, 0x3f3d2fb0, v129, -v243
	;; [unrolled: 5-line block ×3, first 2 shown]
	v_add_f32_e32 v137, v137, v22
	v_fma_f32 v22, 0xbf59a7d5, v125, -v252
	s_wait_loadcnt 0x0
	v_add_f32_e32 v17, v199, v17
	s_delay_alu instid0(VALU_DEP_1) | instskip(SKIP_1) | instid1(VALU_DEP_2)
	v_add_f32_e32 v17, v152, v17
	v_fma_f32 v152, 0xbf7ba420, v7, -v204
	v_add_f32_e32 v17, v200, v17
	s_delay_alu instid0(VALU_DEP_1) | instskip(SKIP_1) | instid1(VALU_DEP_2)
	v_add_f32_e32 v17, v201, v17
	v_dual_mov_b32 v201, v51 :: v_dual_mov_b32 v200, v50
	v_add_f32_e32 v17, v202, v17
	s_delay_alu instid0(VALU_DEP_1) | instskip(NEXT) | instid1(VALU_DEP_1)
	v_add_f32_e32 v17, v165, v17
	v_add_f32_e32 v153, v209, v17
	scratch_load_b32 v17, off, off offset:228 th:TH_LOAD_LU ; 4-byte Folded Reload
	v_add_f32_e32 v22, v22, v139
	v_fma_f32 v139, 0x3f3d2fb0, v7, -v253
	s_delay_alu instid0(VALU_DEP_1) | instskip(SKIP_1) | instid1(VALU_DEP_1)
	v_add_f32_e32 v22, v139, v22
	v_fma_f32 v139, 0x3ee437d1, v11, -v254
	v_add_f32_e32 v22, v139, v22
	v_fma_f32 v139, 0xbf7ba420, v9, -v255
	s_delay_alu instid0(VALU_DEP_1) | instskip(SKIP_1) | instid1(VALU_DEP_1)
	v_add_f32_e32 v22, v139, v22
	v_fma_f32 v139, 0x3dbcf732, v129, -v181
	v_add_f32_e32 v22, v139, v22
	v_fma_f32 v139, 0x3f6eb680, v121, -v182
	v_dual_mov_b32 v182, v35 :: v_dual_mov_b32 v181, v34
	scratch_load_b32 v34, off, off offset:240 th:TH_LOAD_LU ; 4-byte Folded Reload
	v_add_f32_e32 v22, v139, v22
	v_fma_f32 v139, 0xbf1a4643, v116, -v184
	v_dual_mov_b32 v184, v37 :: v_dual_mov_b32 v183, v36
	s_delay_alu instid0(VALU_DEP_2) | instskip(SKIP_3) | instid1(VALU_DEP_1)
	v_add_f32_e32 v139, v139, v22
	v_fma_f32 v22, 0xbf7ba420, v125, -v191
	s_wait_loadcnt 0x1
	v_add_f32_e32 v17, v213, v17
	v_add_f32_e32 v17, v173, v17
	s_delay_alu instid0(VALU_DEP_1) | instskip(NEXT) | instid1(VALU_DEP_1)
	v_dual_add_f32 v17, v174, v17 :: v_dual_mov_b32 v174, v33
	v_add_f32_e32 v0, v0, v17
	s_delay_alu instid0(VALU_DEP_1)
	v_add_f32_e32 v0, v12, v0
	v_fma_f32 v12, 0x3dbcf732, v125, -v13
	scratch_load_b32 v13, off, off offset:224 th:TH_LOAD_LU ; 4-byte Folded Reload
	s_wait_loadcnt 0x1
	v_add_f32_e32 v22, v22, v34
	scratch_load_b32 v34, off, off offset:232 th:TH_LOAD_LU ; 4-byte Folded Reload
	v_add_f32_e32 v22, v141, v22
	v_fma_f32 v141, 0x3f6eb680, v11, -v44
	s_delay_alu instid0(VALU_DEP_1) | instskip(SKIP_4) | instid1(VALU_DEP_4)
	v_add_f32_e32 v22, v141, v22
	v_fma_f32 v141, 0x3ee437d1, v9, -v194
	v_dual_mov_b32 v191, v43 :: v_dual_mov_b32 v190, v42
	v_dual_mov_b32 v40, v72 :: v_dual_mov_b32 v41, v73
	v_mov_b32_e32 v194, v45
	v_add_f32_e32 v22, v141, v22
	v_fma_f32 v141, 0xbf59a7d5, v129, -v195
	v_dual_mov_b32 v43, v75 :: v_dual_mov_b32 v42, v74
	v_dual_mov_b32 v73, v170 :: v_dual_mov_b32 v72, v169
	s_delay_alu instid0(VALU_DEP_3) | instskip(SKIP_2) | instid1(VALU_DEP_2)
	v_add_f32_e32 v22, v141, v22
	v_fma_f32 v141, 0xbf1a4643, v121, -v196
	v_dual_mov_b32 v196, v47 :: v_dual_mov_b32 v195, v46
	v_add_f32_e32 v22, v141, v22
	v_fma_f32 v141, 0x3f3d2fb0, v116, -v198
	s_delay_alu instid0(VALU_DEP_1)
	v_add_f32_e32 v141, v141, v22
	v_fma_f32 v22, 0xbf1a4643, v125, -v203
	s_wait_loadcnt 0x1
	v_add_f32_e32 v12, v12, v13
	v_add_f32_e32 v0, v15, v0
	v_fma_f32 v15, 0xbf1a4643, v7, -v166
	v_fma_f32 v13, 0x3f3d2fb0, v125, -v21
	;; [unrolled: 1-line block ×3, first 2 shown]
	v_fmac_f32_e32 v26, 0xbe3c28d5, v117
	s_delay_alu instid0(VALU_DEP_4)
	v_add_f32_e32 v12, v15, v12
	scratch_load_b32 v15, off, off offset:216 th:TH_LOAD_LU ; 4-byte Folded Reload
	s_wait_loadcnt 0x1
	v_dual_add_f32 v22, v22, v34 :: v_dual_mov_b32 v199, v49
	v_add_f32_e32 v6, v13, v6
	v_add_f32_e32 v2, v2, v12
	v_mov_b32_e32 v198, v48
	s_delay_alu instid0(VALU_DEP_4) | instskip(SKIP_4) | instid1(VALU_DEP_4)
	v_add_f32_e32 v22, v152, v22
	v_fma_f32 v152, 0xbe8c1d8e, v11, -v205
	v_add_f32_e32 v6, v7, v6
	v_fma_f32 v7, 0x3dbcf732, v11, -v126
	v_dual_mov_b32 v173, v32 :: v_dual_add_f32 v2, v10, v2
	v_add_f32_e32 v22, v152, v22
	v_fma_f32 v152, 0x3f3d2fb0, v9, -v68
	s_delay_alu instid0(VALU_DEP_4) | instskip(SKIP_2) | instid1(VALU_DEP_4)
	v_add_f32_e32 v6, v7, v6
	v_fma_f32 v7, 0xbe8c1d8e, v9, -v168
	v_dual_fmac_f32 v143, 0xbf763a35, v8 :: v_dual_add_f32 v2, v4, v2
	v_add_f32_e32 v22, v152, v22
	v_fma_f32 v152, 0x3f6eb680, v129, -v69
	s_delay_alu instid0(VALU_DEP_4)
	v_add_f32_e32 v4, v7, v6
	v_fma_f32 v6, 0xbf1a4643, v129, -v24
	v_lshlrev_b32_e32 v10, 3, v159
	v_add_f32_e32 v2, v5, v2
	v_add_f32_e32 v22, v152, v22
	v_fma_f32 v152, 0x3dbcf732, v121, -v208
	v_dual_mov_b32 v209, v71 :: v_dual_mov_b32 v208, v70
	v_dual_mov_b32 v68, v76 :: v_dual_mov_b32 v203, v53
	s_delay_alu instid0(VALU_DEP_3)
	v_add_f32_e32 v22, v152, v22
	v_fma_f32 v152, 0xbf59a7d5, v116, -v225
	v_mov_b32_e32 v225, v118
	v_dual_mov_b32 v69, v77 :: v_dual_mov_b32 v70, v78
	v_dual_mov_b32 v71, v79 :: v_dual_mov_b32 v74, v80
	;; [unrolled: 1-line block ×7, first 2 shown]
	v_mov_b32_e32 v85, v89
	v_dual_mov_b32 v87, v91 :: v_dual_mov_b32 v88, v92
	v_dual_mov_b32 v89, v93 :: v_dual_mov_b32 v90, v94
	;; [unrolled: 1-line block ×9, first 2 shown]
	v_dual_mov_b32 v105, v109 :: v_dual_add_f32 v152, v152, v22
	v_dual_mov_b32 v106, v110 :: v_dual_mov_b32 v107, v111
	v_dual_mov_b32 v108, v112 :: v_dual_mov_b32 v111, v115
	;; [unrolled: 1-line block ×4, first 2 shown]
	v_dual_mov_b32 v113, v155 :: v_dual_add_f32 v4, v6, v4
	v_fma_f32 v5, 0xbf59a7d5, v121, -v25
	v_dual_mov_b32 v205, v55 :: v_dual_mov_b32 v204, v54
	v_mov_b32_e32 v202, v52
	v_mov_b32_e32 v114, v156
	s_delay_alu instid0(VALU_DEP_4) | instskip(SKIP_2) | instid1(VALU_DEP_1)
	v_add_f32_e32 v4, v5, v4
	v_fma_f32 v5, 0xbf7ba420, v116, -v27
	s_wait_loadcnt 0x0
	v_dual_add_f32 v8, v5, v4 :: v_dual_add_f32 v3, v3, v15
	s_delay_alu instid0(VALU_DEP_1) | instskip(NEXT) | instid1(VALU_DEP_1)
	v_add_f32_e32 v3, v18, v3
	v_add_f32_e32 v3, v19, v3
	s_delay_alu instid0(VALU_DEP_1) | instskip(NEXT) | instid1(VALU_DEP_1)
	v_add_f32_e32 v3, v143, v3
	v_dual_add_f32 v3, v167, v3 :: v_dual_add_f32 v6, v1, v2
	s_delay_alu instid0(VALU_DEP_1) | instskip(NEXT) | instid1(VALU_DEP_1)
	v_dual_add_f32 v3, v20, v3 :: v_dual_fmac_f32 v16, 0x3eb8f4ab, v117
	v_add_f32_e32 v9, v26, v3
	s_delay_alu instid0(VALU_DEP_2)
	v_add_f32_e32 v7, v16, v0
	ds_store_2addr_b64 v10, v[175:176], v[131:132] offset1:1
	ds_store_2addr_b64 v10, v[150:151], v[148:149] offset0:2 offset1:3
	ds_store_2addr_b64 v10, v[146:147], v[144:145] offset0:4 offset1:5
	;; [unrolled: 1-line block ×7, first 2 shown]
	ds_store_b64 v10, v[8:9] offset:128
.LBB0_13:
	s_wait_alu 0xfffe
	s_or_b32 exec_lo, exec_lo, s0
	v_add_nc_u32_e32 v116, 0x800, v212
	v_add_nc_u32_e32 v10, 0x1800, v212
	;; [unrolled: 1-line block ×3, first 2 shown]
	global_wb scope:SCOPE_SE
	s_wait_storecnt_dscnt 0x0
	s_barrier_signal -1
	s_barrier_wait -1
	global_inv scope:SCOPE_SE
	ds_load_2addr_b64 v[0:3], v116 offset0:152 offset1:203
	ds_load_2addr_b64 v[4:7], v10 offset0:150 offset1:201
	;; [unrolled: 1-line block ×3, first 2 shown]
	ds_load_2addr_b64 v[122:125], v212 offset1:51
	ds_load_2addr_b64 v[126:129], v212 offset0:102 offset1:153
	v_add_nc_u32_e32 v9, 0x1c00, v212
	v_add_nc_u32_e32 v11, 0x1000, v212
	;; [unrolled: 1-line block ×3, first 2 shown]
	ds_load_2addr_b64 v[130:133], v212 offset0:204 offset1:255
	ds_load_b64 v[162:163], v212 offset:10608
	ds_load_2addr_b64 v[134:137], v9 offset0:124 offset1:175
	ds_load_2addr_b64 v[138:141], v11 offset0:100 offset1:151
	;; [unrolled: 1-line block ×7, first 2 shown]
	s_clause 0x4
	scratch_load_b128 v[22:25], off, off offset:48 th:TH_LOAD_LU
	scratch_load_b128 v[18:21], off, off offset:32 th:TH_LOAD_LU
	;; [unrolled: 1-line block ×5, first 2 shown]
	s_mov_b32 s2, 0xdee863a6
	s_mov_b32 s3, 0x3f47cbf1
	scratch_load_b128 v[32:35], off, off offset:80 th:TH_LOAD_LU ; 16-byte Folded Reload
	s_wait_loadcnt_dscnt 0x50d
	v_mul_f32_e32 v12, v23, v3
	s_wait_dscnt 0xc
	v_dual_mul_f32 v13, v23, v2 :: v_dual_mul_f32 v14, v25, v5
	s_wait_loadcnt_dscnt 0x40b
	v_dual_mul_f32 v15, v25, v4 :: v_dual_mul_f32 v16, v19, v119
	v_fmac_f32_e32 v12, v22, v2
	s_delay_alu instid0(VALU_DEP_3) | instskip(SKIP_1) | instid1(VALU_DEP_4)
	v_fma_f32 v3, v22, v3, -v13
	v_fmac_f32_e32 v14, v24, v4
	v_fma_f32 v5, v24, v5, -v15
	scratch_load_b128 v[22:25], off, off offset:64 th:TH_LOAD_LU ; 16-byte Folded Reload
	v_dual_mul_f32 v2, v19, v118 :: v_dual_mul_f32 v13, v21, v7
	v_mul_f32_e32 v4, v21, v6
	s_delay_alu instid0(VALU_DEP_2) | instskip(SKIP_2) | instid1(VALU_DEP_1)
	v_fmac_f32_e32 v13, v20, v6
	s_wait_loadcnt 0x0
	v_mul_f32_e32 v19, v23, v121
	v_fmac_f32_e32 v19, v22, v120
	v_fma_f32 v15, v18, v119, -v2
	s_wait_dscnt 0x5
	v_dual_mul_f32 v2, v23, v120 :: v_dual_mul_f32 v23, v33, v139
	s_delay_alu instid0(VALU_DEP_1)
	v_fma_f32 v21, v22, v121, -v2
	s_wait_dscnt 0x1
	v_mul_f32_e32 v121, v47, v155
	v_fma_f32 v17, v20, v7, -v4
	v_dual_mul_f32 v20, v25, v135 :: v_dual_fmac_f32 v23, v32, v138
	v_mul_f32_e32 v4, v25, v134
	v_dual_mul_f32 v2, v33, v138 :: v_dual_add_f32 v7, v3, v5
	s_delay_alu instid0(VALU_DEP_3) | instskip(SKIP_1) | instid1(VALU_DEP_4)
	v_fmac_f32_e32 v20, v24, v134
	v_fmac_f32_e32 v121, v46, v154
	v_fma_f32 v22, v24, v135, -v4
	v_mul_f32_e32 v24, v35, v137
	v_mul_f32_e32 v4, v35, v136
	v_fma_f32 v25, v32, v139, -v2
	s_delay_alu instid0(VALU_DEP_3) | instskip(NEXT) | instid1(VALU_DEP_3)
	v_fmac_f32_e32 v24, v34, v136
	v_fma_f32 v26, v34, v137, -v4
	scratch_load_b128 v[32:35], off, off offset:104 th:TH_LOAD_LU ; 16-byte Folded Reload
	v_mul_f32_e32 v2, v37, v140
	v_fmac_f32_e32 v16, v18, v118
	v_dual_mul_f32 v118, v37, v141 :: v_dual_mul_f32 v37, v39, v143
	v_mul_f32_e32 v4, v39, v142
	s_delay_alu instid0(VALU_DEP_4) | instskip(NEXT) | instid1(VALU_DEP_3)
	v_fma_f32 v27, v36, v141, -v2
	v_dual_mul_f32 v137, v51, v163 :: v_dual_fmac_f32 v118, v36, v140
	s_delay_alu instid0(VALU_DEP_4) | instskip(SKIP_1) | instid1(VALU_DEP_2)
	v_dual_fmac_f32 v37, v38, v142 :: v_dual_sub_f32 v18, v3, v5
	s_wait_dscnt 0x0
	v_dual_mul_f32 v136, v49, v161 :: v_dual_fmac_f32 v137, v50, v162
	v_add_f32_e32 v6, v122, v12
	global_wb scope:SCOPE_SE
	s_wait_loadcnt 0x0
	s_barrier_signal -1
	s_barrier_wait -1
	global_inv scope:SCOPE_SE
	v_mul_f32_e32 v39, v33, v147
	v_mul_f32_e32 v2, v33, v146
	s_delay_alu instid0(VALU_DEP_2) | instskip(NEXT) | instid1(VALU_DEP_2)
	v_fmac_f32_e32 v39, v32, v146
	v_fma_f32 v119, v32, v147, -v2
	v_add_f32_e32 v32, v123, v3
	v_mul_f32_e32 v2, v45, v148
	v_fma_f32 v3, -0.5, v7, v123
	s_delay_alu instid0(VALU_DEP_3) | instskip(SKIP_4) | instid1(VALU_DEP_4)
	v_add_f32_e32 v5, v32, v5
	v_fma_f32 v33, v38, v143, -v4
	v_mul_f32_e32 v4, v35, v144
	v_add_f32_e32 v32, v15, v17
	v_mul_f32_e32 v120, v45, v149
	v_sub_f32_e32 v36, v27, v33
	s_delay_alu instid0(VALU_DEP_4) | instskip(SKIP_1) | instid1(VALU_DEP_4)
	v_fma_f32 v45, v34, v145, -v4
	v_mul_f32_e32 v4, v47, v154
	v_fmac_f32_e32 v120, v44, v148
	v_fma_f32 v44, v44, v149, -v2
	v_mul_f32_e32 v2, v41, v158
	v_mul_f32_e32 v47, v41, v159
	v_fma_f32 v46, v46, v155, -v4
	v_mul_f32_e32 v4, v43, v156
	v_sub_f32_e32 v41, v119, v45
	v_fma_f32 v135, v40, v159, -v2
	v_dual_mul_f32 v2, v49, v160 :: v_dual_fmac_f32 v47, v40, v158
	s_delay_alu instid0(VALU_DEP_4) | instskip(SKIP_2) | instid1(VALU_DEP_4)
	v_fma_f32 v49, v42, v157, -v4
	v_mul_f32_e32 v4, v51, v162
	v_add_f32_e32 v40, v131, v27
	v_fma_f32 v51, v48, v161, -v2
	v_add_f32_e32 v2, v12, v14
	v_sub_f32_e32 v12, v12, v14
	v_mul_f32_e32 v38, v35, v145
	v_fma_f32 v138, v50, v163, -v4
	v_add_f32_e32 v4, v6, v14
	v_fma_f32 v2, -0.5, v2, v122
	v_add_f32_e32 v14, v16, v13
	v_fmamk_f32 v7, v12, 0x3f5db3d7, v3
	v_fmac_f32_e32 v3, 0xbf5db3d7, v12
	v_fmac_f32_e32 v38, v34, v144
	v_fmamk_f32 v6, v18, 0xbf5db3d7, v2
	v_fmac_f32_e32 v2, 0x3f5db3d7, v18
	v_add_f32_e32 v18, v124, v16
	v_fma_f32 v124, -0.5, v14, v124
	v_dual_sub_f32 v34, v15, v17 :: v_dual_add_f32 v15, v125, v15
	s_delay_alu instid0(VALU_DEP_3) | instskip(SKIP_1) | instid1(VALU_DEP_3)
	v_dual_fmac_f32 v125, -0.5, v32 :: v_dual_add_f32 v12, v18, v13
	v_add_f32_e32 v32, v21, v22
	v_fmamk_f32 v14, v34, 0xbf5db3d7, v124
	v_fmac_f32_e32 v124, 0x3f5db3d7, v34
	v_dual_sub_f32 v34, v21, v22 :: v_dual_add_f32 v21, v127, v21
	v_sub_f32_e32 v50, v120, v121
	v_sub_f32_e32 v16, v16, v13
	v_add_f32_e32 v13, v15, v17
	v_add_f32_e32 v17, v19, v20
	v_mul_f32_e32 v134, v43, v157
	s_delay_alu instid0(VALU_DEP_4) | instskip(SKIP_1) | instid1(VALU_DEP_4)
	v_dual_add_f32 v18, v126, v19 :: v_dual_fmamk_f32 v15, v16, 0x3f5db3d7, v125
	v_fmac_f32_e32 v125, 0xbf5db3d7, v16
	v_fma_f32 v16, -0.5, v17, v126
	v_fma_f32 v17, -0.5, v32, v127
	v_dual_sub_f32 v32, v19, v20 :: v_dual_add_f32 v19, v21, v22
	v_add_f32_e32 v22, v23, v24
	v_dual_fmac_f32 v134, v42, v156 :: v_dual_sub_f32 v35, v25, v26
	s_delay_alu instid0(VALU_DEP_3)
	v_fmamk_f32 v21, v32, 0x3f5db3d7, v17
	v_fmac_f32_e32 v17, 0xbf5db3d7, v32
	v_fmac_f32_e32 v136, v48, v160
	v_add_f32_e32 v32, v25, v26
	v_dual_add_f32 v25, v129, v25 :: v_dual_add_f32 v48, v151, v44
	v_add_f32_e32 v18, v18, v20
	v_fmamk_f32 v20, v34, 0xbf5db3d7, v16
	v_fmac_f32_e32 v16, 0x3f5db3d7, v34
	v_add_f32_e32 v34, v128, v23
	v_fma_f32 v128, -0.5, v22, v128
	v_fmac_f32_e32 v129, -0.5, v32
	v_dual_sub_f32 v32, v23, v24 :: v_dual_add_f32 v23, v25, v26
	s_delay_alu instid0(VALU_DEP_4) | instskip(NEXT) | instid1(VALU_DEP_4)
	v_add_f32_e32 v22, v34, v24
	v_fmamk_f32 v24, v35, 0xbf5db3d7, v128
	v_fmac_f32_e32 v128, 0x3f5db3d7, v35
	v_dual_add_f32 v34, v130, v118 :: v_dual_add_f32 v35, v27, v33
	v_dual_add_f32 v26, v118, v37 :: v_dual_fmamk_f32 v25, v32, 0x3f5db3d7, v129
	s_delay_alu instid0(VALU_DEP_2) | instskip(NEXT) | instid1(VALU_DEP_3)
	v_dual_fmac_f32 v129, 0xbf5db3d7, v32 :: v_dual_add_f32 v32, v34, v37
	v_fma_f32 v27, -0.5, v35, v131
	v_sub_f32_e32 v37, v118, v37
	v_add_f32_e32 v33, v40, v33
	v_fma_f32 v26, -0.5, v26, v130
	v_add_f32_e32 v40, v132, v39
	v_add_f32_e32 v43, v44, v46
	v_fmamk_f32 v35, v37, 0x3f5db3d7, v27
	v_fmac_f32_e32 v27, 0xbf5db3d7, v37
	v_add_f32_e32 v37, v119, v45
	ds_store_2addr_b64 v225, v[4:5], v[6:7] offset1:17
	ds_store_b64 v225, v[2:3] offset:272
	scratch_load_b32 v2, off, off offset:96 th:TH_LOAD_LU ; 4-byte Folded Reload
	v_fmamk_f32 v34, v36, 0xbf5db3d7, v26
	v_fmac_f32_e32 v26, 0x3f5db3d7, v36
	v_add_f32_e32 v36, v39, v38
	v_sub_f32_e32 v42, v39, v38
	v_sub_f32_e32 v118, v135, v49
	s_delay_alu instid0(VALU_DEP_3) | instskip(SKIP_3) | instid1(VALU_DEP_4)
	v_fma_f32 v132, -0.5, v36, v132
	v_add_f32_e32 v36, v40, v38
	v_dual_add_f32 v40, v133, v119 :: v_dual_fmac_f32 v133, -0.5, v37
	v_add_f32_e32 v119, v153, v135
	v_fmamk_f32 v38, v41, 0xbf5db3d7, v132
	v_fmac_f32_e32 v132, 0x3f5db3d7, v41
	s_delay_alu instid0(VALU_DEP_4) | instskip(SKIP_4) | instid1(VALU_DEP_4)
	v_add_f32_e32 v37, v40, v45
	v_dual_add_f32 v40, v120, v121 :: v_dual_add_f32 v41, v150, v120
	v_fmamk_f32 v39, v42, 0x3f5db3d7, v133
	v_fmac_f32_e32 v133, 0xbf5db3d7, v42
	v_sub_f32_e32 v45, v44, v46
	v_fma_f32 v40, -0.5, v40, v150
	v_add_f32_e32 v42, v41, v121
	v_fma_f32 v41, -0.5, v43, v151
	v_add_f32_e32 v43, v48, v46
	v_add_f32_e32 v46, v47, v134
	v_fmamk_f32 v44, v45, 0xbf5db3d7, v40
	s_delay_alu instid0(VALU_DEP_4) | instskip(SKIP_4) | instid1(VALU_DEP_4)
	v_dual_fmac_f32 v40, 0x3f5db3d7, v45 :: v_dual_fmamk_f32 v45, v50, 0x3f5db3d7, v41
	v_dual_fmac_f32 v41, 0xbf5db3d7, v50 :: v_dual_add_f32 v50, v135, v49
	v_add_f32_e32 v48, v152, v47
	v_dual_sub_f32 v120, v51, v138 :: v_dual_sub_f32 v121, v136, v137
	v_fma_f32 v152, -0.5, v46, v152
	v_fmac_f32_e32 v153, -0.5, v50
	v_sub_f32_e32 v50, v47, v134
	v_add_f32_e32 v47, v119, v49
	v_add_f32_e32 v119, v0, v136
	;; [unrolled: 1-line block ×3, first 2 shown]
	v_fmamk_f32 v48, v118, 0xbf5db3d7, v152
	v_fmamk_f32 v49, v50, 0x3f5db3d7, v153
	v_fmac_f32_e32 v153, 0xbf5db3d7, v50
	v_dual_add_f32 v50, v51, v138 :: v_dual_add_f32 v51, v1, v51
	v_fmac_f32_e32 v152, 0x3f5db3d7, v118
	v_add_f32_e32 v118, v136, v137
	s_wait_loadcnt 0x0
	ds_store_2addr_b64 v2, v[12:13], v[14:15] offset1:17
	ds_store_b64 v2, v[124:125] offset:272
	scratch_load_b32 v2, off, off offset:100 th:TH_LOAD_LU ; 4-byte Folded Reload
	v_dual_fmac_f32 v1, -0.5, v50 :: v_dual_add_f32 v50, v119, v137
	v_add_f32_e32 v51, v51, v138
	v_fma_f32 v0, -0.5, v118, v0
	s_wait_loadcnt 0x0
	ds_store_2addr_b64 v2, v[18:19], v[20:21] offset1:17
	ds_store_b64 v2, v[16:17] offset:272
	scratch_load_b32 v2, off, off offset:120 th:TH_LOAD_LU ; 4-byte Folded Reload
	v_fmamk_f32 v119, v121, 0x3f5db3d7, v1
	v_dual_fmac_f32 v1, 0xbf5db3d7, v121 :: v_dual_fmamk_f32 v118, v120, 0xbf5db3d7, v0
	v_fmac_f32_e32 v0, 0x3f5db3d7, v120
	s_wait_loadcnt 0x0
	ds_store_2addr_b64 v2, v[22:23], v[24:25] offset1:17
	ds_store_b64 v2, v[128:129] offset:272
	scratch_load_b32 v2, off, off offset:140 th:TH_LOAD_LU ; 4-byte Folded Reload
	s_wait_loadcnt 0x0
	ds_store_2addr_b64 v2, v[32:33], v[34:35] offset1:17
	ds_store_b64 v2, v[26:27] offset:272
	scratch_load_b32 v2, off, off offset:144 th:TH_LOAD_LU ; 4-byte Folded Reload
	;; [unrolled: 4-line block ×3, first 2 shown]
	s_wait_loadcnt 0x0
	ds_store_2addr_b64 v2, v[42:43], v[44:45] offset1:17
	ds_store_b64 v2, v[40:41] offset:272
	ds_store_2addr_b64 v72, v[46:47], v[48:49] offset1:17
	ds_store_b64 v72, v[152:153] offset:272
	;; [unrolled: 2-line block ×3, first 2 shown]
	global_wb scope:SCOPE_SE
	s_wait_dscnt 0x0
	s_barrier_signal -1
	s_barrier_wait -1
	global_inv scope:SCOPE_SE
	ds_load_2addr_b64 v[0:3], v212 offset0:102 offset1:153
	ds_load_2addr_b64 v[12:15], v116 offset0:50 offset1:101
	;; [unrolled: 1-line block ×4, first 2 shown]
	ds_load_2addr_b64 v[4:7], v212 offset1:51
	ds_load_2addr_b64 v[24:27], v11 offset0:202 offset1:253
	ds_load_2addr_b64 v[32:35], v10 offset0:150 offset1:201
	;; [unrolled: 1-line block ×8, first 2 shown]
	ds_load_b64 v[126:127], v212 offset:10608
	scratch_load_b128 v[52:55], off, off offset:200 th:TH_LOAD_LU ; 16-byte Folded Reload
	s_wait_dscnt 0xd
	v_mul_f32_e32 v128, v29, v3
	v_mul_f32_e32 v129, v29, v2
	s_wait_dscnt 0xb
	v_mul_f32_e32 v130, v57, v19
	s_wait_dscnt 0xa
	v_dual_mul_f32 v131, v57, v18 :: v_dual_mul_f32 v132, v59, v21
	v_fmac_f32_e32 v128, v28, v2
	v_fma_f32 v2, v28, v3, -v129
	v_mul_f32_e32 v3, v31, v13
	v_dual_mul_f32 v129, v31, v12 :: v_dual_fmac_f32 v130, v56, v18
	v_fma_f32 v18, v56, v19, -v131
	s_wait_dscnt 0x8
	v_mul_f32_e32 v131, v61, v27
	v_fmac_f32_e32 v3, v30, v12
	v_fma_f32 v129, v30, v13, -v129
	v_dual_mul_f32 v12, v59, v20 :: v_dual_mul_f32 v13, v61, v26
	s_delay_alu instid0(VALU_DEP_4) | instskip(SKIP_2) | instid1(VALU_DEP_3)
	v_dual_fmac_f32 v131, v60, v26 :: v_dual_fmac_f32 v132, v58, v20
	s_wait_dscnt 0x7
	v_mul_f32_e32 v19, v63, v33
	v_fma_f32 v133, v58, v21, -v12
	v_fma_f32 v26, v60, v27, -v13
	s_wait_dscnt 0x6
	v_mul_f32_e32 v21, v65, v39
	s_wait_dscnt 0x5
	v_mul_f32_e32 v27, v67, v41
	v_mul_f32_e32 v13, v67, v40
	v_fmac_f32_e32 v19, v62, v32
	v_fmac_f32_e32 v21, v64, v38
	s_delay_alu instid0(VALU_DEP_4) | instskip(SKIP_4) | instid1(VALU_DEP_3)
	v_dual_mul_f32 v12, v65, v38 :: v_dual_fmac_f32 v27, v66, v40
	v_mul_f32_e32 v20, v63, v32
	v_fma_f32 v38, v66, v41, -v13
	s_wait_dscnt 0x4
	v_dual_mul_f32 v13, v31, v14 :: v_dual_mul_f32 v32, v29, v45
	v_fma_f32 v20, v62, v33, -v20
	v_fma_f32 v33, v64, v39, -v12
	v_dual_mul_f32 v12, v29, v44 :: v_dual_mul_f32 v39, v31, v15
	s_wait_dscnt 0x3
	v_mul_f32_e32 v31, v57, v49
	v_mul_f32_e32 v29, v57, v48
	;; [unrolled: 1-line block ×3, first 2 shown]
	v_fma_f32 v40, v28, v45, -v12
	v_fmac_f32_e32 v39, v30, v14
	v_fma_f32 v30, v30, v15, -v13
	s_wait_dscnt 0x2
	v_mul_f32_e32 v45, v61, v119
	v_mul_f32_e32 v13, v61, v118
	;; [unrolled: 1-line block ×3, first 2 shown]
	v_fmac_f32_e32 v32, v28, v44
	v_fmac_f32_e32 v31, v56, v48
	v_fma_f32 v41, v56, v49, -v29
	v_mul_f32_e32 v44, v59, v23
	v_mul_f32_e32 v12, v59, v22
	v_fmac_f32_e32 v45, v60, v118
	v_fma_f32 v56, v60, v119, -v13
	s_wait_dscnt 0x1
	v_mul_f32_e32 v13, v65, v122
	v_fmac_f32_e32 v57, v66, v42
	v_fma_f32 v42, v66, v43, -v14
	v_dual_sub_f32 v43, v18, v20 :: v_dual_mul_f32 v60, v71, v17
	v_fma_f32 v49, v58, v23, -v12
	v_add_f32_e32 v28, v2, v38
	v_fmac_f32_e32 v44, v58, v22
	v_fma_f32 v58, v64, v123, -v13
	v_mul_f32_e32 v13, v71, v16
	v_fmac_f32_e32 v60, v70, v16
	v_mul_f32_e32 v16, v75, v120
	v_mul_f32_e32 v48, v63, v35
	;; [unrolled: 1-line block ×3, first 2 shown]
	v_sub_f32_e32 v29, v3, v21
	s_delay_alu instid0(VALU_DEP_2) | instskip(SKIP_3) | instid1(VALU_DEP_2)
	v_fmac_f32_e32 v59, v68, v46
	s_wait_loadcnt 0x0
	v_mul_f32_e32 v61, v53, v51
	v_dual_mul_f32 v14, v53, v50 :: v_dual_mul_f32 v15, v55, v24
	v_fmac_f32_e32 v61, v52, v50
	s_delay_alu instid0(VALU_DEP_2) | instskip(SKIP_4) | instid1(VALU_DEP_4)
	v_fma_f32 v50, v52, v51, -v14
	v_dual_mul_f32 v51, v77, v37 :: v_dual_mul_f32 v12, v63, v34
	v_fma_f32 v14, v74, v121, -v16
	v_mul_f32_e32 v16, v77, v36
	v_fma_f32 v15, v54, v25, -v15
	v_fmac_f32_e32 v51, v76, v36
	v_fma_f32 v35, v62, v35, -v12
	v_sub_f32_e32 v36, v129, v33
	v_add_f32_e32 v33, v129, v33
	v_mul_f32_e32 v12, v69, v46
	v_fma_f32 v63, v76, v37, -v16
	v_add_f32_e32 v37, v3, v21
	s_delay_alu instid0(VALU_DEP_3) | instskip(SKIP_3) | instid1(VALU_DEP_2)
	v_fma_f32 v46, v68, v47, -v12
	v_fma_f32 v47, v70, v17, -v13
	v_mul_f32_e32 v13, v55, v25
	v_add_f32_e32 v25, v128, v27
	v_fmac_f32_e32 v13, v54, v24
	scratch_load_b128 v[52:55], off, off offset:184 th:TH_LOAD_LU ; 16-byte Folded Reload
	v_dual_sub_f32 v24, v128, v27 :: v_dual_sub_f32 v27, v2, v38
	v_dual_sub_f32 v38, v130, v19 :: v_dual_fmamk_f32 v3, v25, 0x3f441b7d, v4
	s_delay_alu instid0(VALU_DEP_2)
	v_dual_fmac_f32 v48, v62, v34 :: v_dual_mul_f32 v23, 0x3f248dbb, v24
	global_wb scope:SCOPE_SE
	s_wait_loadcnt_dscnt 0x0
	s_barrier_signal -1
	v_fmac_f32_e32 v3, 0x3e31d0d4, v37
	s_barrier_wait -1
	v_dual_fmac_f32 v23, 0x3f7c1c5c, v29 :: v_dual_mul_f32 v34, v65, v123
	v_dual_sub_f32 v65, v133, v26 :: v_dual_add_f32 v66, v18, v20
	global_inv scope:SCOPE_SE
	v_fmac_f32_e32 v23, 0x3f5db3d7, v38
	v_dual_fmac_f32 v34, v64, v122 :: v_dual_add_f32 v69, v37, v25
	v_mul_f32_e32 v62, v53, v125
	v_mul_f32_e32 v17, v53, v124
	;; [unrolled: 1-line block ×3, first 2 shown]
	v_sub_f32_e32 v64, v132, v131
	v_dual_add_f32 v67, v132, v131 :: v_dual_add_f32 v68, v133, v26
	s_delay_alu instid0(VALU_DEP_3) | instskip(NEXT) | instid1(VALU_DEP_3)
	v_fmac_f32_e32 v53, v54, v126
	v_mul_f32_e32 v21, 0xbf248dbb, v64
	s_delay_alu instid0(VALU_DEP_3) | instskip(SKIP_2) | instid1(VALU_DEP_2)
	v_add_f32_e32 v73, v67, v69
	v_dual_mul_f32 v22, v55, v126 :: v_dual_add_f32 v55, v130, v19
	v_dual_fmamk_f32 v19, v68, 0x3f441b7d, v5 :: v_dual_fmamk_f32 v18, v67, 0x3f441b7d, v4
	v_fmac_f32_e32 v3, -0.5, v55
	s_delay_alu instid0(VALU_DEP_2)
	v_fmac_f32_e32 v19, 0x3e31d0d4, v28
	v_fmac_f32_e32 v62, v52, v124
	v_fma_f32 v52, v52, v125, -v17
	v_fmamk_f32 v17, v28, 0x3f441b7d, v5
	v_fmac_f32_e32 v21, 0x3f7c1c5c, v24
	v_fmac_f32_e32 v19, -0.5, v66
	v_fmac_f32_e32 v3, 0xbf708fb2, v67
	v_fma_f32 v54, v54, v127, -v22
	v_fmac_f32_e32 v17, 0x3e31d0d4, v33
	v_dual_mul_f32 v12, v75, v121 :: v_dual_fmac_f32 v21, 0xbf5db3d7, v38
	v_fmac_f32_e32 v19, 0xbf708fb2, v33
	v_fmac_f32_e32 v23, 0x3eaf1d44, v64
	s_delay_alu instid0(VALU_DEP_3) | instskip(NEXT) | instid1(VALU_DEP_4)
	v_dual_fmac_f32 v17, -0.5, v66 :: v_dual_fmac_f32 v12, v74, v120
	v_dual_fmac_f32 v21, 0x3eaf1d44, v29 :: v_dual_add_f32 v22, v64, v24
	v_mul_f32_e32 v64, 0x3f7c1c5c, v64
	s_delay_alu instid0(VALU_DEP_3) | instskip(SKIP_3) | instid1(VALU_DEP_4)
	v_fmac_f32_e32 v17, 0xbf708fb2, v68
	v_mul_f32_e32 v2, 0x3f248dbb, v27
	v_add_f32_e32 v72, v33, v28
	v_dual_add_f32 v19, v21, v19 :: v_dual_sub_f32 v70, v22, v29
	v_add_f32_e32 v17, v23, v17
	v_fma_f32 v29, 0xbf248dbb, v29, -v64
	s_delay_alu instid0(VALU_DEP_4) | instskip(SKIP_2) | instid1(VALU_DEP_4)
	v_add_f32_e32 v75, v68, v72
	v_fmac_f32_e32 v2, 0x3f7c1c5c, v36
	v_dual_fmamk_f32 v33, v33, 0x3f441b7d, v5 :: v_dual_sub_f32 v64, v39, v34
	v_fmac_f32_e32 v29, 0x3f5db3d7, v38
	v_fma_f32 v21, -2.0, v21, v19
	s_delay_alu instid0(VALU_DEP_4) | instskip(NEXT) | instid1(VALU_DEP_4)
	v_fmac_f32_e32 v2, 0x3f5db3d7, v43
	v_fmac_f32_e32 v33, 0x3e31d0d4, v68
	s_delay_alu instid0(VALU_DEP_4) | instskip(NEXT) | instid1(VALU_DEP_3)
	v_dual_fmac_f32 v29, 0x3eaf1d44, v24 :: v_dual_add_f32 v24, v55, v69
	v_dual_fmac_f32 v2, 0x3eaf1d44, v65 :: v_dual_sub_f32 v69, v49, v56
	s_delay_alu instid0(VALU_DEP_1) | instskip(SKIP_3) | instid1(VALU_DEP_2)
	v_sub_f32_e32 v16, v3, v2
	v_fma_f32 v3, -2.0, v23, v17
	v_add_f32_e32 v23, v65, v27
	v_fmac_f32_e32 v33, -0.5, v66
	v_sub_f32_e32 v71, v23, v36
	v_add_f32_e32 v23, v66, v5
	v_mul_f32_e32 v20, 0xbf248dbb, v65
	v_fmac_f32_e32 v18, 0x3e31d0d4, v25
	v_mul_f32_e32 v65, 0x3f7c1c5c, v65
	s_delay_alu instid0(VALU_DEP_4) | instskip(NEXT) | instid1(VALU_DEP_4)
	v_fmac_f32_e32 v23, -0.5, v75
	v_fmac_f32_e32 v20, 0x3f7c1c5c, v27
	s_delay_alu instid0(VALU_DEP_2) | instskip(NEXT) | instid1(VALU_DEP_2)
	v_dual_fmac_f32 v18, -0.5, v55 :: v_dual_fmac_f32 v23, 0x3f5db3d7, v70
	v_fmac_f32_e32 v20, 0xbf5db3d7, v43
	s_delay_alu instid0(VALU_DEP_2) | instskip(SKIP_1) | instid1(VALU_DEP_1)
	v_fmac_f32_e32 v18, 0xbf708fb2, v37
	v_fmamk_f32 v37, v37, 0x3f441b7d, v4
	v_fmac_f32_e32 v37, 0x3e31d0d4, v67
	s_delay_alu instid0(VALU_DEP_4) | instskip(SKIP_4) | instid1(VALU_DEP_4)
	v_fmac_f32_e32 v20, 0x3eaf1d44, v36
	v_fma_f32 v36, 0xbf248dbb, v36, -v65
	v_sub_f32_e32 v65, v30, v58
	v_add_f32_e32 v67, v39, v34
	v_fmac_f32_e32 v37, -0.5, v55
	v_dual_fmac_f32 v36, 0x3f5db3d7, v43 :: v_dual_sub_f32 v43, v32, v57
	v_add_f32_e32 v57, v32, v57
	s_delay_alu instid0(VALU_DEP_3) | instskip(NEXT) | instid1(VALU_DEP_3)
	v_dual_fmac_f32 v37, 0xbf708fb2, v25 :: v_dual_add_f32 v38, v66, v72
	v_dual_fmac_f32 v36, 0x3eaf1d44, v27 :: v_dual_add_f32 v27, v132, v24
	v_fmac_f32_e32 v33, 0xbf708fb2, v28
	v_add_f32_e32 v72, v49, v56
	v_sub_f32_e32 v68, v44, v45
	v_add_f32_e32 v58, v30, v58
	v_add_f32_e32 v28, v131, v27
	v_dual_add_f32 v22, v55, v4 :: v_dual_add_f32 v27, v29, v33
	v_dual_mul_f32 v33, 0x3f248dbb, v43 :: v_dual_add_f32 v38, v133, v38
	s_delay_alu instid0(VALU_DEP_2) | instskip(SKIP_2) | instid1(VALU_DEP_4)
	v_dual_sub_f32 v55, v40, v42 :: v_dual_fmac_f32 v22, -0.5, v73
	v_add_f32_e32 v40, v40, v42
	v_sub_f32_e32 v42, v31, v48
	v_fmac_f32_e32 v33, 0x3f7c1c5c, v64
	v_add_f32_e32 v4, v28, v4
	v_add_f32_e32 v48, v31, v48
	v_sub_f32_e32 v18, v18, v20
	v_fmac_f32_e32 v22, 0xbf5db3d7, v71
	v_fmac_f32_e32 v33, 0x3f5db3d7, v42
	v_mul_f32_e32 v32, 0x3f248dbb, v55
	v_mul_f32_e32 v73, 0x3f5db3d7, v71
	v_add_f32_e32 v71, v44, v45
	v_add_f32_e32 v39, v69, v55
	v_dual_fmac_f32 v33, 0x3eaf1d44, v68 :: v_dual_add_f32 v38, v26, v38
	v_fmamk_f32 v31, v40, 0x3f441b7d, v7
	v_mul_f32_e32 v74, 0x3f5db3d7, v70
	v_sub_f32_e32 v26, v37, v36
	v_dual_add_f32 v70, v41, v35 :: v_dual_mul_f32 v37, 0xbf248dbb, v68
	s_delay_alu instid0(VALU_DEP_4) | instskip(SKIP_1) | instid1(VALU_DEP_3)
	v_dual_fmac_f32 v31, 0x3e31d0d4, v58 :: v_dual_sub_f32 v66, v41, v35
	v_fmamk_f32 v35, v72, 0x3f441b7d, v7
	v_dual_fmac_f32 v32, 0x3f7c1c5c, v65 :: v_dual_fmac_f32 v37, 0x3f7c1c5c, v43
	v_add_f32_e32 v5, v38, v5
	v_add_f32_e32 v41, v58, v40
	s_delay_alu instid0(VALU_DEP_4) | instskip(SKIP_3) | instid1(VALU_DEP_3)
	v_fmac_f32_e32 v35, 0x3e31d0d4, v40
	v_dual_fmamk_f32 v30, v57, 0x3f441b7d, v6 :: v_dual_fmac_f32 v31, -0.5, v70
	v_fmac_f32_e32 v37, 0xbf5db3d7, v42
	v_fma_f32 v24, 2.0, v73, v22
	v_dual_fmac_f32 v35, -0.5, v70 :: v_dual_fmac_f32 v30, 0x3e31d0d4, v67
	v_fma_f32 v28, 2.0, v36, v26
	v_fmamk_f32 v34, v71, 0x3f441b7d, v6
	v_fmac_f32_e32 v37, 0x3eaf1d44, v64
	s_delay_alu instid0(VALU_DEP_4) | instskip(SKIP_3) | instid1(VALU_DEP_4)
	v_dual_fmac_f32 v35, 0xbf708fb2, v58 :: v_dual_fmac_f32 v30, -0.5, v48
	v_fmac_f32_e32 v31, 0xbf708fb2, v72
	v_fmac_f32_e32 v32, 0x3f5db3d7, v66
	v_add_f32_e32 v38, v68, v43
	v_dual_mul_f32 v36, 0xbf248dbb, v69 :: v_dual_add_f32 v35, v37, v35
	v_fmac_f32_e32 v30, 0xbf708fb2, v71
	v_add_f32_e32 v31, v33, v31
	s_delay_alu instid0(VALU_DEP_4) | instskip(SKIP_3) | instid1(VALU_DEP_3)
	v_dual_sub_f32 v73, v38, v64 :: v_dual_fmac_f32 v32, 0x3eaf1d44, v69
	v_add_f32_e32 v38, v70, v41
	v_dual_fmac_f32 v36, 0x3f7c1c5c, v55 :: v_dual_sub_f32 v75, v39, v65
	v_dual_fmac_f32 v34, 0x3e31d0d4, v57 :: v_dual_add_f32 v39, v70, v7
	v_add_f32_e32 v49, v49, v38
	s_delay_alu instid0(VALU_DEP_3) | instskip(SKIP_2) | instid1(VALU_DEP_4)
	v_fmac_f32_e32 v36, 0xbf5db3d7, v66
	v_sub_f32_e32 v30, v30, v32
	v_fma_f32 v25, -2.0, v74, v23
	v_dual_mul_f32 v68, 0x3f7c1c5c, v68 :: v_dual_add_f32 v49, v56, v49
	s_delay_alu instid0(VALU_DEP_4)
	v_fmac_f32_e32 v36, 0x3eaf1d44, v65
	v_add_f32_e32 v56, v72, v41
	v_mul_f32_e32 v69, 0x3f7c1c5c, v69
	v_fma_f32 v29, -2.0, v29, v27
	v_add_f32_e32 v41, v49, v7
	v_fmac_f32_e32 v7, 0x3f441b7d, v58
	v_dual_add_f32 v38, v48, v6 :: v_dual_fmamk_f32 v49, v67, 0x3f441b7d, v6
	v_add_f32_e32 v74, v67, v57
	v_fma_f32 v20, 2.0, v20, v18
	s_delay_alu instid0(VALU_DEP_4) | instskip(SKIP_3) | instid1(VALU_DEP_4)
	v_fmac_f32_e32 v7, 0x3e31d0d4, v72
	v_mul_f32_e32 v78, 0x3f5db3d7, v75
	v_dual_fmac_f32 v49, 0x3e31d0d4, v71 :: v_dual_fmac_f32 v34, -0.5, v48
	v_add_f32_e32 v77, v71, v74
	v_dual_fmac_f32 v7, -0.5, v70 :: v_dual_mul_f32 v76, 0x3f5db3d7, v73
	s_delay_alu instid0(VALU_DEP_3) | instskip(SKIP_2) | instid1(VALU_DEP_4)
	v_fmac_f32_e32 v49, -0.5, v48
	v_add_f32_e32 v71, v15, v14
	v_fma_f32 v2, 2.0, v2, v16
	v_dual_fmac_f32 v7, 0xbf708fb2, v40 :: v_dual_fmac_f32 v34, 0xbf708fb2, v67
	v_fmac_f32_e32 v39, -0.5, v56
	v_fmac_f32_e32 v49, 0xbf708fb2, v57
	v_sub_f32_e32 v57, v46, v54
	v_fma_f32 v58, 0xbf248dbb, v64, -v68
	v_sub_f32_e32 v34, v34, v36
	v_fma_f32 v64, 0xbf248dbb, v65, -v69
	v_fmac_f32_e32 v39, 0x3f5db3d7, v73
	v_add_f32_e32 v65, v46, v54
	v_fmac_f32_e32 v58, 0x3f5db3d7, v42
	v_sub_f32_e32 v56, v59, v53
	v_dual_fmac_f32 v64, 0x3f5db3d7, v66 :: v_dual_sub_f32 v67, v50, v63
	v_add_f32_e32 v42, v48, v74
	s_delay_alu instid0(VALU_DEP_4) | instskip(SKIP_1) | instid1(VALU_DEP_4)
	v_fmac_f32_e32 v58, 0x3eaf1d44, v43
	v_fmac_f32_e32 v38, -0.5, v77
	v_fmac_f32_e32 v64, 0x3eaf1d44, v55
	v_sub_f32_e32 v68, v13, v12
	v_sub_f32_e32 v66, v61, v51
	v_add_f32_e32 v43, v58, v7
	v_add_f32_e32 v63, v50, v63
	;; [unrolled: 1-line block ×3, first 2 shown]
	v_fmamk_f32 v51, v71, 0x3f441b7d, v1
	v_dual_fmac_f32 v38, 0xbf5db3d7, v75 :: v_dual_sub_f32 v69, v15, v14
	v_fma_f32 v7, -2.0, v58, v43
	v_dual_add_f32 v58, v59, v53 :: v_dual_sub_f32 v59, v60, v62
	v_add_f32_e32 v42, v44, v42
	v_add_f32_e32 v60, v60, v62
	;; [unrolled: 1-line block ×3, first 2 shown]
	s_delay_alu instid0(VALU_DEP_4) | instskip(NEXT) | instid1(VALU_DEP_4)
	v_fmamk_f32 v46, v58, 0x3f441b7d, v0
	v_dual_fmac_f32 v51, 0x3e31d0d4, v65 :: v_dual_add_f32 v40, v45, v42
	v_sub_f32_e32 v42, v49, v64
	v_mul_f32_e32 v49, 0x3f248dbb, v56
	v_mul_f32_e32 v53, 0xbf248dbb, v68
	s_delay_alu instid0(VALU_DEP_4) | instskip(NEXT) | instid1(VALU_DEP_3)
	v_dual_fmac_f32 v46, 0x3e31d0d4, v60 :: v_dual_fmac_f32 v51, -0.5, v63
	v_dual_add_f32 v40, v40, v6 :: v_dual_fmac_f32 v49, 0x3f7c1c5c, v59
	v_add_f32_e32 v55, v69, v57
	v_fma_f32 v45, -2.0, v76, v39
	v_fma_f32 v44, 2.0, v78, v38
	v_fma_f32 v32, 2.0, v32, v30
	v_fmac_f32_e32 v49, 0x3f5db3d7, v66
	v_fma_f32 v6, 2.0, v64, v42
	v_dual_sub_f32 v64, v47, v52 :: v_dual_fmamk_f32 v47, v65, 0x3f441b7d, v1
	v_dual_fmac_f32 v46, -0.5, v61 :: v_dual_fmac_f32 v53, 0x3f7c1c5c, v56
	s_delay_alu instid0(VALU_DEP_4) | instskip(NEXT) | instid1(VALU_DEP_3)
	v_fmac_f32_e32 v49, 0x3eaf1d44, v68
	v_dual_add_f32 v70, v13, v12 :: v_dual_fmac_f32 v47, 0x3e31d0d4, v62
	v_mul_f32_e32 v48, 0x3f248dbb, v57
	s_delay_alu instid0(VALU_DEP_4) | instskip(NEXT) | instid1(VALU_DEP_3)
	v_fmac_f32_e32 v53, 0xbf5db3d7, v66
	v_dual_sub_f32 v75, v55, v64 :: v_dual_fmamk_f32 v50, v70, 0x3f441b7d, v0
	s_delay_alu instid0(VALU_DEP_3) | instskip(NEXT) | instid1(VALU_DEP_3)
	v_dual_fmac_f32 v47, -0.5, v63 :: v_dual_fmac_f32 v48, 0x3f7c1c5c, v64
	v_fmac_f32_e32 v53, 0x3eaf1d44, v59
	s_delay_alu instid0(VALU_DEP_3) | instskip(NEXT) | instid1(VALU_DEP_3)
	v_dual_add_f32 v55, v63, v1 :: v_dual_fmac_f32 v50, 0x3e31d0d4, v58
	v_fmac_f32_e32 v47, 0xbf708fb2, v71
	s_delay_alu instid0(VALU_DEP_4)
	v_fmac_f32_e32 v48, 0x3f5db3d7, v67
	v_add_f32_e32 v54, v68, v56
	v_fmac_f32_e32 v46, 0xbf708fb2, v70
	v_add_f32_e32 v72, v62, v65
	v_fmac_f32_e32 v50, -0.5, v61
	v_dual_fmac_f32 v48, 0x3eaf1d44, v69 :: v_dual_add_f32 v47, v49, v47
	v_fmac_f32_e32 v51, 0xbf708fb2, v62
	v_dual_mul_f32 v52, 0xbf248dbb, v69 :: v_dual_sub_f32 v73, v54, v59
	s_delay_alu instid0(VALU_DEP_3) | instskip(NEXT) | instid1(VALU_DEP_3)
	v_sub_f32_e32 v46, v46, v48
	v_dual_add_f32 v54, v63, v72 :: v_dual_add_f32 v51, v53, v51
	s_delay_alu instid0(VALU_DEP_3)
	v_fmac_f32_e32 v52, 0x3f7c1c5c, v57
	v_mul_f32_e32 v69, 0x3f7c1c5c, v69
	ds_store_2addr_b64 v212, v[4:5], v[16:17] offset1:51
	ds_store_2addr_b64 v212, v[18:19], v[22:23] offset0:102 offset1:153
	ds_store_2addr_b64 v212, v[26:27], v[28:29] offset0:204 offset1:255
	;; [unrolled: 1-line block ×6, first 2 shown]
	v_add_f32_e32 v15, v15, v54
	v_add_nc_u32_e32 v3, 0x1c00, v79
	v_fma_f32 v33, -2.0, v33, v31
	v_fma_f32 v36, 2.0, v36, v34
	v_fma_f32 v37, -2.0, v37, v35
	v_add_f32_e32 v14, v14, v15
	v_add_nc_u32_e32 v2, 0x1800, v79
	v_fma_f32 v48, 2.0, v48, v46
	v_fma_f32 v49, -2.0, v49, v47
	v_add_nc_u32_e32 v4, 0x2000, v79
	v_dual_add_f32 v14, v14, v1 :: v_dual_fmac_f32 v1, 0x3f441b7d, v62
	v_fma_f32 v53, -2.0, v53, v51
	s_delay_alu instid0(VALU_DEP_2) | instskip(SKIP_1) | instid1(VALU_DEP_2)
	v_dual_fmac_f32 v1, 0x3e31d0d4, v71 :: v_dual_add_f32 v74, v60, v58
	v_dual_add_f32 v15, v71, v72 :: v_dual_fmac_f32 v52, 0xbf5db3d7, v67
	v_dual_fmac_f32 v50, 0xbf708fb2, v60 :: v_dual_fmac_f32 v1, -0.5, v63
	s_delay_alu instid0(VALU_DEP_3) | instskip(NEXT) | instid1(VALU_DEP_3)
	v_dual_add_f32 v77, v70, v74 :: v_dual_add_f32 v54, v61, v0
	v_dual_fmac_f32 v52, 0x3eaf1d44, v64 :: v_dual_fmac_f32 v55, -0.5, v15
	v_dual_fmamk_f32 v60, v60, 0x3f441b7d, v0 :: v_dual_add_f32 v15, v61, v74
	s_delay_alu instid0(VALU_DEP_2) | instskip(SKIP_2) | instid1(VALU_DEP_4)
	v_dual_fmac_f32 v1, 0xbf708fb2, v65 :: v_dual_sub_f32 v50, v50, v52
	v_mul_f32_e32 v68, 0x3f7c1c5c, v68
	v_fma_f32 v64, 0xbf248dbb, v64, -v69
	v_fmac_f32_e32 v60, 0x3e31d0d4, v70
	v_dual_mul_f32 v76, 0x3f5db3d7, v73 :: v_dual_add_f32 v13, v13, v15
	s_delay_alu instid0(VALU_DEP_4) | instskip(NEXT) | instid1(VALU_DEP_4)
	v_fma_f32 v62, 0xbf248dbb, v59, -v68
	v_fmac_f32_e32 v64, 0x3f5db3d7, v67
	s_delay_alu instid0(VALU_DEP_4)
	v_fmac_f32_e32 v60, -0.5, v61
	v_fmac_f32_e32 v54, -0.5, v77
	v_add_f32_e32 v12, v12, v13
	v_fmac_f32_e32 v62, 0x3f5db3d7, v66
	v_fmac_f32_e32 v64, 0x3eaf1d44, v57
	;; [unrolled: 1-line block ×3, first 2 shown]
	v_dual_mul_f32 v78, 0x3f5db3d7, v75 :: v_dual_fmac_f32 v55, 0x3f5db3d7, v73
	s_delay_alu instid0(VALU_DEP_4) | instskip(SKIP_1) | instid1(VALU_DEP_4)
	v_fmac_f32_e32 v62, 0x3eaf1d44, v56
	v_fmac_f32_e32 v54, 0xbf5db3d7, v75
	v_sub_f32_e32 v56, v60, v64
	v_add_f32_e32 v13, v12, v0
	v_fma_f32 v52, 2.0, v52, v50
	v_add_f32_e32 v57, v62, v1
	v_fma_f32 v58, 2.0, v78, v54
	v_fma_f32 v0, 2.0, v64, v56
	v_fma_f32 v59, -2.0, v76, v55
	s_delay_alu instid0(VALU_DEP_4)
	v_fma_f32 v1, -2.0, v62, v57
	ds_store_2addr_b64 v11, v[6:7], v[44:45] offset0:202 offset1:253
	ds_store_2addr_b64 v10, v[36:37], v[32:33] offset0:48 offset1:99
	;; [unrolled: 1-line block ×6, first 2 shown]
	ds_store_b64 v79, v[48:49] offset:10608
	global_wb scope:SCOPE_SE
	s_wait_dscnt 0x0
	s_barrier_signal -1
	s_barrier_wait -1
	global_inv scope:SCOPE_SE
	ds_load_2addr_b64 v[0:3], v116 offset0:152 offset1:203
	ds_load_2addr_b64 v[4:7], v10 offset0:150 offset1:201
	;; [unrolled: 1-line block ×3, first 2 shown]
	ds_load_2addr_b64 v[16:19], v212 offset1:51
	ds_load_2addr_b64 v[20:23], v212 offset0:102 offset1:153
	ds_load_2addr_b64 v[24:27], v9 offset0:124 offset1:175
	;; [unrolled: 1-line block ×8, first 2 shown]
	ds_load_b64 v[56:57], v212 offset:10608
	ds_load_2addr_b64 v[52:55], v10 offset0:48 offset1:99
	s_wait_dscnt 0xd
	v_mul_f32_e32 v58, v81, v3
	v_mul_f32_e32 v59, v81, v2
	s_wait_dscnt 0xc
	v_mul_f32_e32 v61, v87, v7
	s_wait_dscnt 0x8
	v_mul_f32_e32 v67, v91, v27
	v_fma_f32 v3, v80, v3, -v59
	v_mul_f32_e32 v59, v85, v13
	s_wait_dscnt 0x7
	v_dual_fmac_f32 v61, v86, v6 :: v_dual_mul_f32 v66, v89, v29
	s_wait_dscnt 0x2
	v_dual_mul_f32 v70, v97, v41 :: v_dual_mul_f32 v75, v107, v51
	s_wait_dscnt 0x1
	v_mul_f32_e32 v77, v115, v57
	v_mul_f32_e32 v60, v83, v5
	v_fmac_f32_e32 v58, v80, v2
	v_mul_f32_e32 v2, v83, v4
	v_fmac_f32_e32 v59, v84, v12
	v_fmac_f32_e32 v77, v114, v56
	v_mul_f32_e32 v69, v103, v37
	v_mul_f32_e32 v71, v99, v39
	v_fma_f32 v5, v82, v5, -v2
	v_fmac_f32_e32 v60, v82, v4
	v_mul_f32_e32 v4, v85, v12
	v_dual_mul_f32 v2, v87, v6 :: v_dual_fmac_f32 v69, v102, v36
	s_delay_alu instid0(VALU_DEP_4) | instskip(SKIP_1) | instid1(VALU_DEP_4)
	v_sub_f32_e32 v12, v3, v5
	v_mul_f32_e32 v72, v109, v43
	v_fma_f32 v13, v84, v13, -v4
	v_mul_f32_e32 v62, v93, v15
	v_mul_f32_e32 v4, v93, v14
	v_fma_f32 v63, v86, v7, -v2
	v_add_f32_e32 v7, v3, v5
	v_mul_f32_e32 v64, v95, v25
	v_fmac_f32_e32 v62, v92, v14
	v_fma_f32 v65, v92, v15, -v4
	v_add_f32_e32 v14, v17, v3
	v_fma_f32 v3, -0.5, v7, v17
	v_sub_f32_e32 v15, v58, v60
	v_mul_f32_e32 v2, v95, v24
	v_dual_sub_f32 v17, v59, v61 :: v_dual_mul_f32 v4, v89, v28
	s_delay_alu instid0(VALU_DEP_3)
	v_dual_fmac_f32 v66, v88, v28 :: v_dual_fmamk_f32 v7, v15, 0x3f5db3d7, v3
	v_fmac_f32_e32 v3, 0xbf5db3d7, v15
	v_dual_add_f32 v15, v13, v63 :: v_dual_fmac_f32 v64, v94, v24
	v_fma_f32 v25, v94, v25, -v2
	v_mul_f32_e32 v2, v91, v26
	v_fma_f32 v28, v88, v29, -v4
	v_mul_f32_e32 v4, v101, v30
	v_mul_f32_e32 v68, v101, v31
	v_add_f32_e32 v29, v21, v65
	v_fma_f32 v27, v90, v27, -v2
	v_mul_f32_e32 v2, v103, v36
	v_fma_f32 v31, v100, v31, -v4
	v_mul_f32_e32 v4, v97, v40
	v_dual_fmac_f32 v70, v96, v40 :: v_dual_mul_f32 v73, v111, v49
	s_delay_alu instid0(VALU_DEP_4) | instskip(SKIP_1) | instid1(VALU_DEP_4)
	v_fma_f32 v37, v102, v37, -v2
	v_mul_f32_e32 v2, v99, v38
	v_fma_f32 v40, v96, v41, -v4
	v_mul_f32_e32 v4, v109, v42
	s_wait_dscnt 0x0
	v_dual_mul_f32 v76, v113, v55 :: v_dual_add_f32 v41, v31, v37
	v_fma_f32 v39, v98, v39, -v2
	v_mul_f32_e32 v2, v111, v48
	v_fma_f32 v43, v108, v43, -v4
	v_mul_f32_e32 v74, v105, v53
	v_dual_mul_f32 v4, v105, v52 :: v_dual_fmac_f32 v75, v106, v50
	s_delay_alu instid0(VALU_DEP_4) | instskip(SKIP_1) | instid1(VALU_DEP_4)
	v_fma_f32 v49, v110, v49, -v2
	v_mul_f32_e32 v2, v107, v50
	v_fmac_f32_e32 v74, v104, v52
	s_delay_alu instid0(VALU_DEP_4) | instskip(SKIP_4) | instid1(VALU_DEP_4)
	v_fma_f32 v52, v104, v53, -v4
	v_mul_f32_e32 v4, v113, v54
	v_dual_fmac_f32 v76, v112, v54 :: v_dual_sub_f32 v53, v43, v49
	v_fma_f32 v51, v106, v51, -v2
	v_mul_f32_e32 v2, v115, v56
	v_fma_f32 v54, v112, v55, -v4
	v_add_f32_e32 v56, v45, v43
	v_add_f32_e32 v4, v58, v60
	;; [unrolled: 1-line block ×3, first 2 shown]
	v_fma_f32 v55, v114, v57, -v2
	v_add_f32_e32 v5, v14, v5
	v_add_f32_e32 v14, v18, v59
	v_fma_f32 v2, -0.5, v4, v16
	v_add_f32_e32 v4, v6, v60
	v_dual_sub_f32 v16, v13, v63 :: v_dual_add_f32 v13, v19, v13
	s_delay_alu instid0(VALU_DEP_3) | instskip(SKIP_2) | instid1(VALU_DEP_3)
	v_dual_fmac_f32 v19, -0.5, v15 :: v_dual_fmamk_f32 v6, v12, 0xbf5db3d7, v2
	v_dual_fmac_f32 v2, 0x3f5db3d7, v12 :: v_dual_add_f32 v57, v52, v51
	v_dual_add_f32 v12, v59, v61 :: v_dual_fmac_f32 v71, v98, v38
	v_fmamk_f32 v15, v17, 0x3f5db3d7, v19
	v_fmac_f32_e32 v19, 0xbf5db3d7, v17
	v_add_f32_e32 v17, v65, v25
	s_delay_alu instid0(VALU_DEP_4)
	v_fma_f32 v18, -0.5, v12, v18
	v_add_f32_e32 v12, v14, v61
	v_fmac_f32_e32 v67, v90, v26
	v_add_f32_e32 v60, v1, v54
	v_sub_f32_e32 v26, v65, v25
	v_fmamk_f32 v14, v16, 0xbf5db3d7, v18
	v_dual_fmac_f32 v18, 0x3f5db3d7, v16 :: v_dual_sub_f32 v59, v54, v55
	v_add_f32_e32 v16, v62, v64
	v_fma_f32 v17, -0.5, v17, v21
	v_dual_add_f32 v21, v29, v25 :: v_dual_sub_f32 v50, v70, v71
	v_sub_f32_e32 v61, v76, v77
	v_add_f32_e32 v24, v20, v62
	v_fma_f32 v16, -0.5, v16, v20
	v_dual_add_f32 v29, v22, v66 :: v_dual_sub_f32 v36, v28, v27
	v_fmac_f32_e32 v73, v110, v48
	s_delay_alu instid0(VALU_DEP_4) | instskip(NEXT) | instid1(VALU_DEP_4)
	v_add_f32_e32 v20, v24, v64
	v_fmamk_f32 v24, v26, 0xbf5db3d7, v16
	v_fmac_f32_e32 v16, 0x3f5db3d7, v26
	v_add_f32_e32 v26, v66, v67
	v_sub_f32_e32 v48, v40, v39
	v_dual_add_f32 v13, v13, v63 :: v_dual_add_f32 v58, v0, v76
	s_delay_alu instid0(VALU_DEP_3) | instskip(SKIP_3) | instid1(VALU_DEP_1)
	v_fma_f32 v22, -0.5, v26, v22
	v_dual_add_f32 v26, v29, v67 :: v_dual_add_f32 v29, v23, v28
	v_fmac_f32_e32 v68, v100, v30
	v_sub_f32_e32 v30, v62, v64
	v_fmamk_f32 v25, v30, 0x3f5db3d7, v17
	v_dual_fmac_f32 v17, 0xbf5db3d7, v30 :: v_dual_add_f32 v30, v28, v27
	v_fmamk_f32 v28, v36, 0xbf5db3d7, v22
	v_dual_fmac_f32 v22, 0x3f5db3d7, v36 :: v_dual_add_f32 v27, v29, v27
	s_delay_alu instid0(VALU_DEP_3) | instskip(SKIP_1) | instid1(VALU_DEP_1)
	v_dual_add_f32 v36, v68, v69 :: v_dual_fmac_f32 v23, -0.5, v30
	v_sub_f32_e32 v30, v66, v67
	v_dual_add_f32 v38, v32, v68 :: v_dual_fmamk_f32 v29, v30, 0x3f5db3d7, v23
	v_fmac_f32_e32 v23, 0xbf5db3d7, v30
	s_delay_alu instid0(VALU_DEP_4) | instskip(NEXT) | instid1(VALU_DEP_3)
	v_fma_f32 v30, -0.5, v36, v32
	v_add_f32_e32 v32, v38, v69
	v_add_f32_e32 v38, v33, v31
	v_fmac_f32_e32 v72, v108, v42
	v_sub_f32_e32 v42, v31, v37
	v_fma_f32 v31, -0.5, v41, v33
	v_sub_f32_e32 v41, v68, v69
	v_add_f32_e32 v33, v38, v37
	v_add_f32_e32 v38, v70, v71
	v_fmamk_f32 v36, v42, 0xbf5db3d7, v30
	v_fmac_f32_e32 v30, 0x3f5db3d7, v42
	v_dual_add_f32 v42, v34, v70 :: v_dual_fmamk_f32 v37, v41, 0x3f5db3d7, v31
	v_fmac_f32_e32 v31, 0xbf5db3d7, v41
	v_add_f32_e32 v41, v40, v39
	v_fma_f32 v34, -0.5, v38, v34
	s_delay_alu instid0(VALU_DEP_4) | instskip(NEXT) | instid1(VALU_DEP_3)
	v_add_f32_e32 v38, v42, v71
	v_dual_add_f32 v42, v35, v40 :: v_dual_fmac_f32 v35, -0.5, v41
	s_delay_alu instid0(VALU_DEP_3) | instskip(NEXT) | instid1(VALU_DEP_2)
	v_fmamk_f32 v40, v48, 0xbf5db3d7, v34
	v_dual_fmac_f32 v34, 0x3f5db3d7, v48 :: v_dual_add_f32 v39, v42, v39
	s_delay_alu instid0(VALU_DEP_3) | instskip(SKIP_2) | instid1(VALU_DEP_3)
	v_dual_add_f32 v42, v72, v73 :: v_dual_fmamk_f32 v41, v50, 0x3f5db3d7, v35
	v_dual_add_f32 v48, v44, v72 :: v_dual_fmac_f32 v35, 0xbf5db3d7, v50
	v_add_f32_e32 v50, v43, v49
	v_fma_f32 v42, -0.5, v42, v44
	s_delay_alu instid0(VALU_DEP_3) | instskip(NEXT) | instid1(VALU_DEP_3)
	v_add_f32_e32 v44, v48, v73
	v_fma_f32 v43, -0.5, v50, v45
	v_sub_f32_e32 v50, v72, v73
	s_delay_alu instid0(VALU_DEP_4)
	v_fmamk_f32 v48, v53, 0xbf5db3d7, v42
	v_fmac_f32_e32 v42, 0x3f5db3d7, v53
	v_add_f32_e32 v45, v56, v49
	v_add_f32_e32 v53, v74, v75
	;; [unrolled: 1-line block ×3, first 2 shown]
	v_fmamk_f32 v49, v50, 0x3f5db3d7, v43
	v_fmac_f32_e32 v43, 0xbf5db3d7, v50
	s_delay_alu instid0(VALU_DEP_4) | instskip(SKIP_3) | instid1(VALU_DEP_3)
	v_fma_f32 v46, -0.5, v53, v46
	v_sub_f32_e32 v53, v52, v51
	v_add_f32_e32 v50, v56, v75
	v_dual_add_f32 v56, v47, v52 :: v_dual_fmac_f32 v47, -0.5, v57
	v_dual_sub_f32 v57, v74, v75 :: v_dual_fmamk_f32 v52, v53, 0xbf5db3d7, v46
	s_delay_alu instid0(VALU_DEP_2) | instskip(NEXT) | instid1(VALU_DEP_2)
	v_dual_fmac_f32 v46, 0x3f5db3d7, v53 :: v_dual_add_f32 v51, v56, v51
	v_dual_add_f32 v56, v76, v77 :: v_dual_fmamk_f32 v53, v57, 0x3f5db3d7, v47
	v_fmac_f32_e32 v47, 0xbf5db3d7, v57
	v_add_f32_e32 v57, v54, v55
	v_add_f32_e32 v54, v58, v77
	s_delay_alu instid0(VALU_DEP_4) | instskip(SKIP_1) | instid1(VALU_DEP_2)
	v_fma_f32 v0, -0.5, v56, v0
	v_add_f32_e32 v55, v60, v55
	v_dual_fmac_f32 v1, -0.5, v57 :: v_dual_fmamk_f32 v56, v59, 0xbf5db3d7, v0
	s_delay_alu instid0(VALU_DEP_1)
	v_dual_fmac_f32 v0, 0x3f5db3d7, v59 :: v_dual_fmamk_f32 v57, v61, 0x3f5db3d7, v1
	v_fmac_f32_e32 v1, 0xbf5db3d7, v61
	ds_store_2addr_b64 v212, v[4:5], v[12:13] offset1:51
	ds_store_2addr_b64 v10, v[2:3], v[18:19] offset0:150 offset1:201
	ds_store_2addr_b64 v117, v[14:15], v[24:25] offset0:126 offset1:177
	;; [unrolled: 1-line block ×12, first 2 shown]
	ds_store_b64 v212, v[0:1] offset:10608
	global_wb scope:SCOPE_SE
	s_wait_dscnt 0x0
	s_barrier_signal -1
	s_barrier_wait -1
	global_inv scope:SCOPE_SE
	s_clause 0x1
	scratch_load_b64 v[12:13], off, off offset:16 th:TH_LOAD_LU
	scratch_load_b64 v[18:19], off, off offset:24 th:TH_LOAD_LU
	ds_load_2addr_b64 v[0:3], v212 offset1:81
	v_mad_co_u64_u32 v[30:31], null, s4, v197, 0
	s_wait_loadcnt_dscnt 0x100
	v_mul_f32_e32 v4, v13, v1
	s_wait_loadcnt 0x0
	v_dual_mul_f32 v5, v13, v0 :: v_dual_mul_f32 v6, v19, v3
	s_delay_alu instid0(VALU_DEP_2) | instskip(NEXT) | instid1(VALU_DEP_2)
	v_fmac_f32_e32 v4, v12, v0
	v_fma_f32 v0, v12, v1, -v5
	v_mul_f32_e32 v1, v19, v2
	s_delay_alu instid0(VALU_DEP_4) | instskip(NEXT) | instid1(VALU_DEP_4)
	v_fmac_f32_e32 v6, v18, v2
	v_cvt_f64_f32_e32 v[12:13], v4
	s_delay_alu instid0(VALU_DEP_4) | instskip(NEXT) | instid1(VALU_DEP_4)
	v_cvt_f64_f32_e32 v[14:15], v0
	v_fma_f32 v0, v18, v3, -v1
	s_delay_alu instid0(VALU_DEP_4) | instskip(NEXT) | instid1(VALU_DEP_2)
	v_cvt_f64_f32_e32 v[16:17], v6
	v_cvt_f64_f32_e32 v[18:19], v0
	ds_load_2addr_b64 v[0:3], v212 offset0:162 offset1:243
	ds_load_2addr_b64 v[4:7], v116 offset0:68 offset1:149
	s_clause 0x1
	scratch_load_b64 v[24:25], off, off offset:8 th:TH_LOAD_LU
	scratch_load_b64 v[28:29], off, off th:TH_LOAD_LU
	s_wait_dscnt 0x1
	v_mul_f32_e32 v20, v209, v1
	v_mul_f32_e32 v21, v209, v0
	s_delay_alu instid0(VALU_DEP_2) | instskip(NEXT) | instid1(VALU_DEP_2)
	v_fmac_f32_e32 v20, v208, v0
	v_fma_f32 v21, v208, v1, -v21
	s_wait_alu 0xfffe
	v_mul_f64_e32 v[12:13], s[2:3], v[12:13]
	v_mul_f64_e32 v[14:15], s[2:3], v[14:15]
	;; [unrolled: 1-line block ×4, first 2 shown]
	v_cvt_f64_f32_e32 v[18:19], v20
	v_cvt_f64_f32_e32 v[20:21], v21
	v_cvt_f32_f64_e32 v12, v[12:13]
	v_cvt_f32_f64_e32 v13, v[14:15]
	s_wait_loadcnt 0x1
	v_mul_f32_e32 v22, v25, v3
	v_mul_f32_e32 v23, v25, v2
	s_wait_loadcnt_dscnt 0x0
	v_dual_mul_f32 v25, v207, v4 :: v_dual_mul_f32 v26, v29, v7
	v_mul_f32_e32 v27, v29, v6
	v_fmac_f32_e32 v22, v24, v2
	v_fma_f32 v23, v24, v3, -v23
	v_mul_f32_e32 v24, v207, v5
	v_fma_f32 v25, v206, v5, -v25
	v_fmac_f32_e32 v26, v28, v6
	v_fma_f32 v27, v28, v7, -v27
	v_cvt_f64_f32_e32 v[2:3], v22
	v_fmac_f32_e32 v24, v206, v4
	v_cvt_f64_f32_e32 v[22:23], v23
	v_cvt_f64_f32_e32 v[6:7], v25
	v_mad_co_u64_u32 v[28:29], null, s6, v194, 0
	s_delay_alu instid0(VALU_DEP_4) | instskip(SKIP_2) | instid1(VALU_DEP_4)
	v_cvt_f64_f32_e32 v[4:5], v24
	v_cvt_f64_f32_e32 v[24:25], v26
	;; [unrolled: 1-line block ×3, first 2 shown]
	v_mad_co_u64_u32 v[32:33], null, s7, v194, v[29:30]
	s_delay_alu instid0(VALU_DEP_1)
	v_mad_co_u64_u32 v[14:15], null, s5, v197, v[31:32]
	v_cvt_f32_f64_e32 v15, v[16:17]
	v_cvt_f32_f64_e32 v16, v[0:1]
	v_mov_b32_e32 v29, v32
	v_mul_f64_e32 v[17:18], s[2:3], v[18:19]
	v_mul_f64_e32 v[19:20], s[2:3], v[20:21]
	v_mov_b32_e32 v31, v14
	s_delay_alu instid0(VALU_DEP_4) | instskip(NEXT) | instid1(VALU_DEP_1)
	v_lshlrev_b64_e32 v[0:1], 3, v[28:29]
	v_add_co_u32 v0, s0, s10, v0
	s_wait_alu 0xf1ff
	s_delay_alu instid0(VALU_DEP_2)
	v_add_co_ci_u32_e64 v1, s0, s11, v1, s0
	v_mul_f64_e32 v[32:33], s[2:3], v[2:3]
	v_lshlrev_b64_e32 v[2:3], 3, v[30:31]
	v_mul_f64_e32 v[21:22], s[2:3], v[22:23]
	v_mul_f64_e32 v[34:35], s[2:3], v[6:7]
	;; [unrolled: 1-line block ×5, first 2 shown]
	v_add_co_u32 v4, s0, v0, v2
	s_wait_alu 0xf1ff
	v_add_co_ci_u32_e64 v5, s0, v1, v3, s0
	ds_load_2addr_b64 v[0:3], v117 offset0:102 offset1:183
	s_mul_u64 s[0:1], s[4:5], 0x51
	s_wait_alu 0xfffe
	s_lshl_b64 s[6:7], s[0:1], 3
	s_wait_alu 0xfffe
	v_add_co_u32 v30, s0, v4, s6
	s_wait_alu 0xf1ff
	v_add_co_ci_u32_e64 v31, s0, s7, v5, s0
	s_clause 0x1
	global_store_b64 v[4:5], v[12:13], off
	global_store_b64 v[30:31], v[15:16], off
	ds_load_2addr_b64 v[4:7], v11 offset0:136 offset1:217
	v_cvt_f32_f64_e32 v37, v[19:20]
	v_cvt_f32_f64_e32 v36, v[17:18]
	ds_load_b64 v[46:47], v212 offset:10368
	v_add_co_u32 v30, s0, v30, s6
	s_wait_alu 0xf1ff
	v_add_co_ci_u32_e64 v31, s0, s7, v31, s0
	s_wait_dscnt 0x2
	v_mul_f32_e32 v16, v205, v1
	v_mul_f32_e32 v12, v205, v0
	v_add_co_u32 v60, s0, v30, s6
	s_wait_alu 0xf1ff
	v_add_co_ci_u32_e64 v61, s0, s7, v31, s0
	v_fmac_f32_e32 v16, v204, v0
	v_fma_f32 v0, v204, v1, -v12
	v_mul_f32_e32 v1, v196, v3
	v_cvt_f32_f64_e32 v20, v[32:33]
	ds_load_2addr_b64 v[12:15], v10 offset0:42 offset1:123
	v_cvt_f32_f64_e32 v21, v[21:22]
	v_cvt_f64_f32_e32 v[32:33], v0
	v_mul_f32_e32 v0, v196, v2
	v_cvt_f32_f64_e32 v22, v[23:24]
	v_cvt_f32_f64_e32 v23, v[25:26]
	v_cvt_f64_f32_e32 v[24:25], v16
	s_wait_dscnt 0x2
	v_mul_f32_e32 v16, v203, v5
	v_fmac_f32_e32 v1, v195, v2
	v_dual_mul_f32 v2, v203, v4 :: v_dual_mul_f32 v17, v186, v7
	v_fma_f32 v0, v195, v3, -v0
	s_delay_alu instid0(VALU_DEP_4) | instskip(SKIP_1) | instid1(VALU_DEP_4)
	v_fmac_f32_e32 v16, v202, v4
	v_cvt_f32_f64_e32 v27, v[28:29]
	v_fma_f32 v18, v202, v5, -v2
	v_fmac_f32_e32 v17, v185, v6
	v_cvt_f32_f64_e32 v28, v[34:35]
	v_cvt_f64_f32_e32 v[34:35], v1
	v_cvt_f64_f32_e32 v[4:5], v0
	ds_load_2addr_b64 v[0:3], v9 offset0:76 offset1:157
	v_cvt_f64_f32_e32 v[38:39], v16
	v_cvt_f64_f32_e32 v[40:41], v18
	;; [unrolled: 1-line block ×3, first 2 shown]
	ds_load_2addr_b64 v[16:19], v8 offset0:110 offset1:191
	v_mul_f32_e32 v6, v186, v6
	s_wait_dscnt 0x2
	v_mul_f32_e32 v26, v191, v13
	v_dual_mul_f32 v29, v191, v12 :: v_dual_mul_f32 v44, v193, v15
	v_mul_f32_e32 v45, v193, v14
	v_fma_f32 v6, v185, v7, -v6
	s_delay_alu instid0(VALU_DEP_4) | instskip(NEXT) | instid1(VALU_DEP_4)
	v_fmac_f32_e32 v26, v190, v12
	v_fma_f32 v29, v190, v13, -v29
	v_fmac_f32_e32 v44, v192, v14
	v_fma_f32 v48, v192, v15, -v45
	v_cvt_f64_f32_e32 v[6:7], v6
	v_cvt_f64_f32_e32 v[12:13], v26
	;; [unrolled: 1-line block ×3, first 2 shown]
	v_mul_f32_e32 v56, v201, v47
	s_wait_dscnt 0x1
	v_dual_mul_f32 v57, v201, v46 :: v_dual_mul_f32 v26, v182, v1
	v_dual_mul_f32 v29, v182, v0 :: v_dual_mul_f32 v50, v189, v3
	s_wait_dscnt 0x0
	v_dual_mul_f32 v51, v189, v2 :: v_dual_mul_f32 v54, v184, v17
	s_delay_alu instid0(VALU_DEP_3) | instskip(NEXT) | instid1(VALU_DEP_3)
	v_fmac_f32_e32 v26, v181, v0
	v_fma_f32 v29, v181, v1, -v29
	v_fmac_f32_e32 v50, v188, v2
	s_delay_alu instid0(VALU_DEP_4)
	v_fma_f32 v52, v188, v3, -v51
	v_fmac_f32_e32 v54, v183, v16
	v_mul_f32_e32 v16, v184, v16
	v_cvt_f64_f32_e32 v[0:1], v26
	v_cvt_f64_f32_e32 v[2:3], v29
	v_mul_f32_e32 v26, v199, v19
	v_mul_f32_e32 v29, v199, v18
	v_fma_f32 v16, v183, v17, -v16
	v_fmac_f32_e32 v56, v200, v46
	v_fma_f32 v58, v200, v47, -v57
	v_fmac_f32_e32 v26, v198, v18
	v_fma_f32 v29, v198, v19, -v29
	v_cvt_f64_f32_e32 v[44:45], v44
	v_cvt_f64_f32_e32 v[48:49], v48
	v_cvt_f64_f32_e32 v[50:51], v50
	v_cvt_f64_f32_e32 v[52:53], v52
	v_cvt_f64_f32_e32 v[54:55], v54
	v_cvt_f64_f32_e32 v[16:17], v16
	v_cvt_f64_f32_e32 v[18:19], v26
	v_cvt_f64_f32_e32 v[46:47], v29
	v_cvt_f64_f32_e32 v[56:57], v56
	v_cvt_f64_f32_e32 v[58:59], v58
	v_mul_f64_e32 v[24:25], s[2:3], v[24:25]
	v_mul_f64_e32 v[32:33], s[2:3], v[32:33]
	;; [unrolled: 1-line block ×10, first 2 shown]
	v_add_co_u32 v62, s0, v60, s6
	s_wait_alu 0xf1ff
	v_add_co_ci_u32_e64 v63, s0, s7, v61, s0
	s_delay_alu instid0(VALU_DEP_2) | instskip(SKIP_1) | instid1(VALU_DEP_2)
	v_add_co_u32 v64, s0, v62, s6
	s_wait_alu 0xf1ff
	v_add_co_ci_u32_e64 v65, s0, s7, v63, s0
	s_clause 0x2
	global_store_b64 v[30:31], v[36:37], off
	global_store_b64 v[60:61], v[20:21], off
	;; [unrolled: 1-line block ×4, first 2 shown]
	v_mul_f64_e32 v[0:1], s[2:3], v[0:1]
	v_mul_f64_e32 v[2:3], s[2:3], v[2:3]
	;; [unrolled: 1-line block ×12, first 2 shown]
	v_cvt_f32_f64_e32 v24, v[24:25]
	v_cvt_f32_f64_e32 v25, v[32:33]
	;; [unrolled: 1-line block ×4, first 2 shown]
	v_add_co_u32 v32, s0, v64, s6
	s_wait_alu 0xf1ff
	v_add_co_ci_u32_e64 v33, s0, s7, v65, s0
	v_cvt_f32_f64_e32 v38, v[38:39]
	v_cvt_f32_f64_e32 v39, v[40:41]
	;; [unrolled: 1-line block ×4, first 2 shown]
	v_add_co_u32 v4, s0, v32, s6
	s_wait_alu 0xf1ff
	v_add_co_ci_u32_e64 v5, s0, s7, v33, s0
	v_cvt_f32_f64_e32 v6, v[12:13]
	v_cvt_f32_f64_e32 v7, v[14:15]
	v_add_co_u32 v40, s0, v4, s6
	s_wait_alu 0xf1ff
	v_add_co_ci_u32_e64 v41, s0, s7, v5, s0
	s_delay_alu instid0(VALU_DEP_2) | instskip(SKIP_1) | instid1(VALU_DEP_2)
	v_add_co_u32 v12, s0, v40, s6
	s_wait_alu 0xf1ff
	v_add_co_ci_u32_e64 v13, s0, s7, v41, s0
	v_cvt_f32_f64_e32 v14, v[20:21]
	v_cvt_f32_f64_e32 v15, v[22:23]
	;; [unrolled: 1-line block ×6, first 2 shown]
	v_add_co_u32 v0, s0, v12, s6
	v_cvt_f32_f64_e32 v22, v[30:31]
	v_cvt_f32_f64_e32 v23, v[16:17]
	;; [unrolled: 1-line block ×4, first 2 shown]
	s_wait_alu 0xf1ff
	v_add_co_ci_u32_e64 v1, s0, s7, v13, s0
	v_cvt_f32_f64_e32 v18, v[44:45]
	v_cvt_f32_f64_e32 v19, v[46:47]
	global_store_b64 v[32:33], v[24:25], off
	v_add_co_u32 v24, s0, v0, s6
	s_wait_alu 0xf1ff
	v_add_co_ci_u32_e64 v25, s0, s7, v1, s0
	global_store_b64 v[4:5], v[34:35], off
	v_add_co_u32 v4, s0, v24, s6
	s_wait_alu 0xf1ff
	v_add_co_ci_u32_e64 v5, s0, s7, v25, s0
	;; [unrolled: 4-line block ×6, first 2 shown]
	global_store_b64 v[4:5], v[20:21], off
	global_store_b64 v[26:27], v[2:3], off
	;; [unrolled: 1-line block ×5, first 2 shown]
	s_and_b32 exec_lo, exec_lo, vcc_lo
	s_cbranch_execz .LBB0_15
; %bb.14:
	global_load_b64 v[6:7], v[173:174], off offset:408
	ds_load_2addr_b64 v[2:5], v212 offset0:51 offset1:132
	v_mad_co_u64_u32 v[0:1], null, 0xffffd918, s4, v[0:1]
	s_mul_i32 s0, s5, 0xffffd918
	s_wait_alu 0xfffe
	s_sub_co_i32 s0, s0, s4
	s_wait_loadcnt_dscnt 0x0
	s_wait_alu 0xfffe
	s_delay_alu instid0(VALU_DEP_1) | instskip(SKIP_1) | instid1(VALU_DEP_2)
	v_dual_mul_f32 v12, v3, v7 :: v_dual_add_nc_u32 v1, s0, v1
	v_mul_f32_e32 v7, v2, v7
	v_fmac_f32_e32 v12, v2, v6
	s_delay_alu instid0(VALU_DEP_2) | instskip(NEXT) | instid1(VALU_DEP_2)
	v_fma_f32 v6, v6, v3, -v7
	v_cvt_f64_f32_e32 v[2:3], v12
	s_delay_alu instid0(VALU_DEP_2) | instskip(NEXT) | instid1(VALU_DEP_2)
	v_cvt_f64_f32_e32 v[6:7], v6
	v_mul_f64_e32 v[2:3], s[2:3], v[2:3]
	s_delay_alu instid0(VALU_DEP_2) | instskip(NEXT) | instid1(VALU_DEP_2)
	v_mul_f64_e32 v[6:7], s[2:3], v[6:7]
	v_cvt_f32_f64_e32 v2, v[2:3]
	s_delay_alu instid0(VALU_DEP_2)
	v_cvt_f32_f64_e32 v3, v[6:7]
	global_store_b64 v[0:1], v[2:3], off
	global_load_b64 v[2:3], v[173:174], off offset:1056
	s_wait_loadcnt 0x0
	v_mul_f32_e32 v6, v5, v3
	v_mul_f32_e32 v3, v4, v3
	s_delay_alu instid0(VALU_DEP_2) | instskip(NEXT) | instid1(VALU_DEP_2)
	v_fmac_f32_e32 v6, v4, v2
	v_fma_f32 v4, v2, v5, -v3
	s_delay_alu instid0(VALU_DEP_2) | instskip(NEXT) | instid1(VALU_DEP_2)
	v_cvt_f64_f32_e32 v[2:3], v6
	v_cvt_f64_f32_e32 v[4:5], v4
	s_delay_alu instid0(VALU_DEP_2) | instskip(NEXT) | instid1(VALU_DEP_2)
	v_mul_f64_e32 v[2:3], s[2:3], v[2:3]
	v_mul_f64_e32 v[4:5], s[2:3], v[4:5]
	s_delay_alu instid0(VALU_DEP_2) | instskip(NEXT) | instid1(VALU_DEP_2)
	v_cvt_f32_f64_e32 v2, v[2:3]
	v_cvt_f32_f64_e32 v3, v[4:5]
	v_add_co_u32 v4, vcc_lo, v0, s6
	s_wait_alu 0xfffd
	v_add_co_ci_u32_e32 v5, vcc_lo, s7, v1, vcc_lo
	v_add_nc_u32_e32 v0, 0x400, v212
	global_store_b64 v[4:5], v[2:3], off
	global_load_b64 v[6:7], v[173:174], off offset:1704
	ds_load_2addr_b64 v[0:3], v0 offset0:85 offset1:166
	v_add_co_u32 v4, vcc_lo, v4, s6
	s_wait_alu 0xfffd
	v_add_co_ci_u32_e32 v5, vcc_lo, s7, v5, vcc_lo
	s_wait_loadcnt_dscnt 0x0
	v_mul_f32_e32 v12, v1, v7
	v_mul_f32_e32 v7, v0, v7
	s_delay_alu instid0(VALU_DEP_2) | instskip(NEXT) | instid1(VALU_DEP_2)
	v_fmac_f32_e32 v12, v0, v6
	v_fma_f32 v6, v6, v1, -v7
	s_delay_alu instid0(VALU_DEP_2) | instskip(NEXT) | instid1(VALU_DEP_2)
	v_cvt_f64_f32_e32 v[0:1], v12
	v_cvt_f64_f32_e32 v[6:7], v6
	s_delay_alu instid0(VALU_DEP_2) | instskip(NEXT) | instid1(VALU_DEP_2)
	v_mul_f64_e32 v[0:1], s[2:3], v[0:1]
	v_mul_f64_e32 v[6:7], s[2:3], v[6:7]
	s_delay_alu instid0(VALU_DEP_2) | instskip(NEXT) | instid1(VALU_DEP_2)
	v_cvt_f32_f64_e32 v0, v[0:1]
	v_cvt_f32_f64_e32 v1, v[6:7]
	global_store_b64 v[4:5], v[0:1], off
	global_load_b64 v[0:1], v[173:174], off offset:2352
	v_add_co_u32 v4, vcc_lo, v4, s6
	s_wait_alu 0xfffd
	v_add_co_ci_u32_e32 v5, vcc_lo, s7, v5, vcc_lo
	s_wait_loadcnt 0x0
	v_mul_f32_e32 v6, v3, v1
	v_mul_f32_e32 v1, v2, v1
	s_delay_alu instid0(VALU_DEP_2) | instskip(NEXT) | instid1(VALU_DEP_2)
	v_fmac_f32_e32 v6, v2, v0
	v_fma_f32 v2, v0, v3, -v1
	s_delay_alu instid0(VALU_DEP_2) | instskip(NEXT) | instid1(VALU_DEP_2)
	v_cvt_f64_f32_e32 v[0:1], v6
	v_cvt_f64_f32_e32 v[2:3], v2
	s_delay_alu instid0(VALU_DEP_2) | instskip(NEXT) | instid1(VALU_DEP_2)
	v_mul_f64_e32 v[0:1], s[2:3], v[0:1]
	v_mul_f64_e32 v[2:3], s[2:3], v[2:3]
	s_delay_alu instid0(VALU_DEP_2) | instskip(NEXT) | instid1(VALU_DEP_2)
	v_cvt_f32_f64_e32 v0, v[0:1]
	v_cvt_f32_f64_e32 v1, v[2:3]
	global_store_b64 v[4:5], v[0:1], off
	global_load_b64 v[6:7], v[173:174], off offset:3000
	ds_load_2addr_b64 v[0:3], v116 offset0:119 offset1:200
	v_add_co_u32 v4, vcc_lo, v4, s6
	s_wait_alu 0xfffd
	v_add_co_ci_u32_e32 v5, vcc_lo, s7, v5, vcc_lo
	s_wait_loadcnt_dscnt 0x0
	v_mul_f32_e32 v12, v1, v7
	v_mul_f32_e32 v7, v0, v7
	s_delay_alu instid0(VALU_DEP_2) | instskip(NEXT) | instid1(VALU_DEP_2)
	v_fmac_f32_e32 v12, v0, v6
	v_fma_f32 v6, v6, v1, -v7
	s_delay_alu instid0(VALU_DEP_2) | instskip(NEXT) | instid1(VALU_DEP_2)
	v_cvt_f64_f32_e32 v[0:1], v12
	v_cvt_f64_f32_e32 v[6:7], v6
	s_delay_alu instid0(VALU_DEP_2) | instskip(NEXT) | instid1(VALU_DEP_2)
	v_mul_f64_e32 v[0:1], s[2:3], v[0:1]
	v_mul_f64_e32 v[6:7], s[2:3], v[6:7]
	s_delay_alu instid0(VALU_DEP_2) | instskip(NEXT) | instid1(VALU_DEP_2)
	v_cvt_f32_f64_e32 v0, v[0:1]
	v_cvt_f32_f64_e32 v1, v[6:7]
	global_store_b64 v[4:5], v[0:1], off
	global_load_b64 v[0:1], v[173:174], off offset:3648
	v_add_co_u32 v4, vcc_lo, v4, s6
	s_wait_alu 0xfffd
	v_add_co_ci_u32_e32 v5, vcc_lo, s7, v5, vcc_lo
	s_wait_loadcnt 0x0
	v_mul_f32_e32 v6, v3, v1
	v_mul_f32_e32 v1, v2, v1
	s_delay_alu instid0(VALU_DEP_2) | instskip(NEXT) | instid1(VALU_DEP_2)
	v_fmac_f32_e32 v6, v2, v0
	v_fma_f32 v2, v0, v3, -v1
	s_delay_alu instid0(VALU_DEP_2) | instskip(NEXT) | instid1(VALU_DEP_2)
	v_cvt_f64_f32_e32 v[0:1], v6
	v_cvt_f64_f32_e32 v[2:3], v2
	s_delay_alu instid0(VALU_DEP_2) | instskip(NEXT) | instid1(VALU_DEP_2)
	v_mul_f64_e32 v[0:1], s[2:3], v[0:1]
	v_mul_f64_e32 v[2:3], s[2:3], v[2:3]
	s_delay_alu instid0(VALU_DEP_2) | instskip(NEXT) | instid1(VALU_DEP_2)
	v_cvt_f32_f64_e32 v0, v[0:1]
	v_cvt_f32_f64_e32 v1, v[2:3]
	;; [unrolled: 41-line block ×3, first 2 shown]
	global_store_b64 v[4:5], v[0:1], off
	global_load_b64 v[6:7], v[173:174], off offset:5592
	v_add_nc_u32_e32 v0, 0x1400, v212
	v_add_co_u32 v4, vcc_lo, v4, s6
	s_wait_alu 0xfffd
	v_add_co_ci_u32_e32 v5, vcc_lo, s7, v5, vcc_lo
	ds_load_2addr_b64 v[0:3], v0 offset0:59 offset1:140
	s_wait_loadcnt_dscnt 0x0
	v_mul_f32_e32 v11, v1, v7
	v_mul_f32_e32 v7, v0, v7
	s_delay_alu instid0(VALU_DEP_2) | instskip(NEXT) | instid1(VALU_DEP_2)
	v_fmac_f32_e32 v11, v0, v6
	v_fma_f32 v6, v6, v1, -v7
	s_delay_alu instid0(VALU_DEP_2) | instskip(NEXT) | instid1(VALU_DEP_2)
	v_cvt_f64_f32_e32 v[0:1], v11
	v_cvt_f64_f32_e32 v[6:7], v6
	s_delay_alu instid0(VALU_DEP_2) | instskip(NEXT) | instid1(VALU_DEP_2)
	v_mul_f64_e32 v[0:1], s[2:3], v[0:1]
	v_mul_f64_e32 v[6:7], s[2:3], v[6:7]
	s_delay_alu instid0(VALU_DEP_2) | instskip(NEXT) | instid1(VALU_DEP_2)
	v_cvt_f32_f64_e32 v0, v[0:1]
	v_cvt_f32_f64_e32 v1, v[6:7]
	global_store_b64 v[4:5], v[0:1], off
	global_load_b64 v[0:1], v[173:174], off offset:6240
	v_add_co_u32 v4, vcc_lo, v4, s6
	s_wait_alu 0xfffd
	v_add_co_ci_u32_e32 v5, vcc_lo, s7, v5, vcc_lo
	s_wait_loadcnt 0x0
	v_mul_f32_e32 v6, v3, v1
	v_mul_f32_e32 v1, v2, v1
	s_delay_alu instid0(VALU_DEP_2) | instskip(NEXT) | instid1(VALU_DEP_2)
	v_fmac_f32_e32 v6, v2, v0
	v_fma_f32 v2, v0, v3, -v1
	s_delay_alu instid0(VALU_DEP_2) | instskip(NEXT) | instid1(VALU_DEP_2)
	v_cvt_f64_f32_e32 v[0:1], v6
	v_cvt_f64_f32_e32 v[2:3], v2
	s_delay_alu instid0(VALU_DEP_2) | instskip(NEXT) | instid1(VALU_DEP_2)
	v_mul_f64_e32 v[0:1], s[2:3], v[0:1]
	v_mul_f64_e32 v[2:3], s[2:3], v[2:3]
	s_delay_alu instid0(VALU_DEP_2) | instskip(NEXT) | instid1(VALU_DEP_2)
	v_cvt_f32_f64_e32 v0, v[0:1]
	v_cvt_f32_f64_e32 v1, v[2:3]
	global_store_b64 v[4:5], v[0:1], off
	global_load_b64 v[6:7], v[173:174], off offset:6888
	ds_load_2addr_b64 v[0:3], v10 offset0:93 offset1:174
	v_add_co_u32 v4, vcc_lo, v4, s6
	s_wait_alu 0xfffd
	v_add_co_ci_u32_e32 v5, vcc_lo, s7, v5, vcc_lo
	s_wait_loadcnt_dscnt 0x0
	v_mul_f32_e32 v10, v1, v7
	v_mul_f32_e32 v7, v0, v7
	s_delay_alu instid0(VALU_DEP_2) | instskip(NEXT) | instid1(VALU_DEP_2)
	v_fmac_f32_e32 v10, v0, v6
	v_fma_f32 v6, v6, v1, -v7
	s_delay_alu instid0(VALU_DEP_2) | instskip(NEXT) | instid1(VALU_DEP_2)
	v_cvt_f64_f32_e32 v[0:1], v10
	v_cvt_f64_f32_e32 v[6:7], v6
	s_delay_alu instid0(VALU_DEP_2) | instskip(NEXT) | instid1(VALU_DEP_2)
	v_mul_f64_e32 v[0:1], s[2:3], v[0:1]
	v_mul_f64_e32 v[6:7], s[2:3], v[6:7]
	s_delay_alu instid0(VALU_DEP_2) | instskip(NEXT) | instid1(VALU_DEP_2)
	v_cvt_f32_f64_e32 v0, v[0:1]
	v_cvt_f32_f64_e32 v1, v[6:7]
	global_store_b64 v[4:5], v[0:1], off
	global_load_b64 v[0:1], v[173:174], off offset:7536
	v_add_co_u32 v4, vcc_lo, v4, s6
	s_wait_alu 0xfffd
	v_add_co_ci_u32_e32 v5, vcc_lo, s7, v5, vcc_lo
	s_wait_loadcnt 0x0
	v_mul_f32_e32 v6, v3, v1
	v_mul_f32_e32 v1, v2, v1
	s_delay_alu instid0(VALU_DEP_2) | instskip(NEXT) | instid1(VALU_DEP_2)
	v_fmac_f32_e32 v6, v2, v0
	v_fma_f32 v2, v0, v3, -v1
	s_delay_alu instid0(VALU_DEP_2) | instskip(NEXT) | instid1(VALU_DEP_2)
	v_cvt_f64_f32_e32 v[0:1], v6
	v_cvt_f64_f32_e32 v[2:3], v2
	s_delay_alu instid0(VALU_DEP_2) | instskip(NEXT) | instid1(VALU_DEP_2)
	v_mul_f64_e32 v[0:1], s[2:3], v[0:1]
	v_mul_f64_e32 v[2:3], s[2:3], v[2:3]
	s_delay_alu instid0(VALU_DEP_2) | instskip(NEXT) | instid1(VALU_DEP_2)
	v_cvt_f32_f64_e32 v0, v[0:1]
	v_cvt_f32_f64_e32 v1, v[2:3]
	global_store_b64 v[4:5], v[0:1], off
	global_load_b64 v[6:7], v[173:174], off offset:8184
	ds_load_2addr_b64 v[0:3], v9 offset0:127 offset1:208
	v_add_co_u32 v4, vcc_lo, v4, s6
	s_wait_alu 0xfffd
	v_add_co_ci_u32_e32 v5, vcc_lo, s7, v5, vcc_lo
	;; [unrolled: 41-line block ×3, first 2 shown]
	s_wait_loadcnt_dscnt 0x0
	v_mul_f32_e32 v8, v1, v7
	v_mul_f32_e32 v7, v0, v7
	s_delay_alu instid0(VALU_DEP_2) | instskip(NEXT) | instid1(VALU_DEP_2)
	v_fmac_f32_e32 v8, v0, v6
	v_fma_f32 v6, v6, v1, -v7
	s_delay_alu instid0(VALU_DEP_2) | instskip(NEXT) | instid1(VALU_DEP_2)
	v_cvt_f64_f32_e32 v[0:1], v8
	v_cvt_f64_f32_e32 v[6:7], v6
	s_delay_alu instid0(VALU_DEP_2) | instskip(NEXT) | instid1(VALU_DEP_2)
	v_mul_f64_e32 v[0:1], s[2:3], v[0:1]
	v_mul_f64_e32 v[6:7], s[2:3], v[6:7]
	s_delay_alu instid0(VALU_DEP_2) | instskip(NEXT) | instid1(VALU_DEP_2)
	v_cvt_f32_f64_e32 v0, v[0:1]
	v_cvt_f32_f64_e32 v1, v[6:7]
	global_store_b64 v[4:5], v[0:1], off
	global_load_b64 v[0:1], v[173:174], off offset:10128
	s_wait_loadcnt 0x0
	v_mul_f32_e32 v6, v3, v1
	v_mul_f32_e32 v1, v2, v1
	s_delay_alu instid0(VALU_DEP_2) | instskip(NEXT) | instid1(VALU_DEP_2)
	v_fmac_f32_e32 v6, v2, v0
	v_fma_f32 v2, v0, v3, -v1
	s_delay_alu instid0(VALU_DEP_2) | instskip(NEXT) | instid1(VALU_DEP_2)
	v_cvt_f64_f32_e32 v[0:1], v6
	v_cvt_f64_f32_e32 v[2:3], v2
	s_delay_alu instid0(VALU_DEP_2) | instskip(NEXT) | instid1(VALU_DEP_2)
	v_mul_f64_e32 v[0:1], s[2:3], v[0:1]
	v_mul_f64_e32 v[2:3], s[2:3], v[2:3]
	s_delay_alu instid0(VALU_DEP_2) | instskip(NEXT) | instid1(VALU_DEP_2)
	v_cvt_f32_f64_e32 v0, v[0:1]
	v_cvt_f32_f64_e32 v1, v[2:3]
	v_add_co_u32 v2, vcc_lo, v4, s6
	s_wait_alu 0xfffd
	v_add_co_ci_u32_e32 v3, vcc_lo, s7, v5, vcc_lo
	ds_load_b64 v[4:5], v212 offset:10776
	global_store_b64 v[2:3], v[0:1], off
	global_load_b64 v[0:1], v[173:174], off offset:10776
	v_add_co_u32 v2, vcc_lo, v2, s6
	s_wait_alu 0xfffd
	v_add_co_ci_u32_e32 v3, vcc_lo, s7, v3, vcc_lo
	s_wait_loadcnt_dscnt 0x0
	v_mul_f32_e32 v6, v5, v1
	v_mul_f32_e32 v1, v4, v1
	s_delay_alu instid0(VALU_DEP_2) | instskip(NEXT) | instid1(VALU_DEP_2)
	v_fmac_f32_e32 v6, v4, v0
	v_fma_f32 v4, v0, v5, -v1
	s_delay_alu instid0(VALU_DEP_2) | instskip(NEXT) | instid1(VALU_DEP_2)
	v_cvt_f64_f32_e32 v[0:1], v6
	v_cvt_f64_f32_e32 v[4:5], v4
	s_delay_alu instid0(VALU_DEP_2) | instskip(NEXT) | instid1(VALU_DEP_2)
	v_mul_f64_e32 v[0:1], s[2:3], v[0:1]
	v_mul_f64_e32 v[4:5], s[2:3], v[4:5]
	s_delay_alu instid0(VALU_DEP_2) | instskip(NEXT) | instid1(VALU_DEP_2)
	v_cvt_f32_f64_e32 v0, v[0:1]
	v_cvt_f32_f64_e32 v1, v[4:5]
	global_store_b64 v[2:3], v[0:1], off
.LBB0_15:
	s_nop 0
	s_sendmsg sendmsg(MSG_DEALLOC_VGPRS)
	s_endpgm
	.section	.rodata,"a",@progbits
	.p2align	6, 0x0
	.amdhsa_kernel bluestein_single_back_len1377_dim1_sp_op_CI_CI
		.amdhsa_group_segment_fixed_size 11016
		.amdhsa_private_segment_fixed_size 284
		.amdhsa_kernarg_size 104
		.amdhsa_user_sgpr_count 2
		.amdhsa_user_sgpr_dispatch_ptr 0
		.amdhsa_user_sgpr_queue_ptr 0
		.amdhsa_user_sgpr_kernarg_segment_ptr 1
		.amdhsa_user_sgpr_dispatch_id 0
		.amdhsa_user_sgpr_private_segment_size 0
		.amdhsa_wavefront_size32 1
		.amdhsa_uses_dynamic_stack 0
		.amdhsa_enable_private_segment 1
		.amdhsa_system_sgpr_workgroup_id_x 1
		.amdhsa_system_sgpr_workgroup_id_y 0
		.amdhsa_system_sgpr_workgroup_id_z 0
		.amdhsa_system_sgpr_workgroup_info 0
		.amdhsa_system_vgpr_workitem_id 0
		.amdhsa_next_free_vgpr 256
		.amdhsa_next_free_sgpr 16
		.amdhsa_reserve_vcc 1
		.amdhsa_float_round_mode_32 0
		.amdhsa_float_round_mode_16_64 0
		.amdhsa_float_denorm_mode_32 3
		.amdhsa_float_denorm_mode_16_64 3
		.amdhsa_fp16_overflow 0
		.amdhsa_workgroup_processor_mode 1
		.amdhsa_memory_ordered 1
		.amdhsa_forward_progress 0
		.amdhsa_round_robin_scheduling 0
		.amdhsa_exception_fp_ieee_invalid_op 0
		.amdhsa_exception_fp_denorm_src 0
		.amdhsa_exception_fp_ieee_div_zero 0
		.amdhsa_exception_fp_ieee_overflow 0
		.amdhsa_exception_fp_ieee_underflow 0
		.amdhsa_exception_fp_ieee_inexact 0
		.amdhsa_exception_int_div_zero 0
	.end_amdhsa_kernel
	.text
.Lfunc_end0:
	.size	bluestein_single_back_len1377_dim1_sp_op_CI_CI, .Lfunc_end0-bluestein_single_back_len1377_dim1_sp_op_CI_CI
                                        ; -- End function
	.section	.AMDGPU.csdata,"",@progbits
; Kernel info:
; codeLenInByte = 45448
; NumSgprs: 18
; NumVgprs: 256
; ScratchSize: 284
; MemoryBound: 0
; FloatMode: 240
; IeeeMode: 1
; LDSByteSize: 11016 bytes/workgroup (compile time only)
; SGPRBlocks: 2
; VGPRBlocks: 31
; NumSGPRsForWavesPerEU: 18
; NumVGPRsForWavesPerEU: 256
; Occupancy: 5
; WaveLimiterHint : 1
; COMPUTE_PGM_RSRC2:SCRATCH_EN: 1
; COMPUTE_PGM_RSRC2:USER_SGPR: 2
; COMPUTE_PGM_RSRC2:TRAP_HANDLER: 0
; COMPUTE_PGM_RSRC2:TGID_X_EN: 1
; COMPUTE_PGM_RSRC2:TGID_Y_EN: 0
; COMPUTE_PGM_RSRC2:TGID_Z_EN: 0
; COMPUTE_PGM_RSRC2:TIDIG_COMP_CNT: 0
	.text
	.p2alignl 7, 3214868480
	.fill 96, 4, 3214868480
	.type	__hip_cuid_e4cb6b3ca67a5a92,@object ; @__hip_cuid_e4cb6b3ca67a5a92
	.section	.bss,"aw",@nobits
	.globl	__hip_cuid_e4cb6b3ca67a5a92
__hip_cuid_e4cb6b3ca67a5a92:
	.byte	0                               ; 0x0
	.size	__hip_cuid_e4cb6b3ca67a5a92, 1

	.ident	"AMD clang version 19.0.0git (https://github.com/RadeonOpenCompute/llvm-project roc-6.4.0 25133 c7fe45cf4b819c5991fe208aaa96edf142730f1d)"
	.section	".note.GNU-stack","",@progbits
	.addrsig
	.addrsig_sym __hip_cuid_e4cb6b3ca67a5a92
	.amdgpu_metadata
---
amdhsa.kernels:
  - .args:
      - .actual_access:  read_only
        .address_space:  global
        .offset:         0
        .size:           8
        .value_kind:     global_buffer
      - .actual_access:  read_only
        .address_space:  global
        .offset:         8
        .size:           8
        .value_kind:     global_buffer
      - .actual_access:  read_only
        .address_space:  global
        .offset:         16
        .size:           8
        .value_kind:     global_buffer
      - .actual_access:  read_only
        .address_space:  global
        .offset:         24
        .size:           8
        .value_kind:     global_buffer
      - .actual_access:  read_only
        .address_space:  global
        .offset:         32
        .size:           8
        .value_kind:     global_buffer
      - .offset:         40
        .size:           8
        .value_kind:     by_value
      - .address_space:  global
        .offset:         48
        .size:           8
        .value_kind:     global_buffer
      - .address_space:  global
        .offset:         56
        .size:           8
        .value_kind:     global_buffer
      - .address_space:  global
        .offset:         64
        .size:           8
        .value_kind:     global_buffer
      - .address_space:  global
        .offset:         72
        .size:           8
        .value_kind:     global_buffer
      - .offset:         80
        .size:           4
        .value_kind:     by_value
      - .address_space:  global
        .offset:         88
        .size:           8
        .value_kind:     global_buffer
      - .address_space:  global
        .offset:         96
        .size:           8
        .value_kind:     global_buffer
    .group_segment_fixed_size: 11016
    .kernarg_segment_align: 8
    .kernarg_segment_size: 104
    .language:       OpenCL C
    .language_version:
      - 2
      - 0
    .max_flat_workgroup_size: 51
    .name:           bluestein_single_back_len1377_dim1_sp_op_CI_CI
    .private_segment_fixed_size: 284
    .sgpr_count:     18
    .sgpr_spill_count: 0
    .symbol:         bluestein_single_back_len1377_dim1_sp_op_CI_CI.kd
    .uniform_work_group_size: 1
    .uses_dynamic_stack: false
    .vgpr_count:     256
    .vgpr_spill_count: 70
    .wavefront_size: 32
    .workgroup_processor_mode: 1
amdhsa.target:   amdgcn-amd-amdhsa--gfx1201
amdhsa.version:
  - 1
  - 2
...

	.end_amdgpu_metadata
